;; amdgpu-corpus repo=ROCm/rocFFT kind=compiled arch=gfx950 opt=O3
	.text
	.amdgcn_target "amdgcn-amd-amdhsa--gfx950"
	.amdhsa_code_object_version 6
	.protected	bluestein_single_back_len224_dim1_sp_op_CI_CI ; -- Begin function bluestein_single_back_len224_dim1_sp_op_CI_CI
	.globl	bluestein_single_back_len224_dim1_sp_op_CI_CI
	.p2align	8
	.type	bluestein_single_back_len224_dim1_sp_op_CI_CI,@function
bluestein_single_back_len224_dim1_sp_op_CI_CI: ; @bluestein_single_back_len224_dim1_sp_op_CI_CI
; %bb.0:
	s_load_dwordx4 s[16:19], s[0:1], 0x28
	v_lshrrev_b32_e32 v34, 4, v0
	v_lshl_or_b32 v2, s2, 2, v34
	v_mov_b32_e32 v3, 0
	s_waitcnt lgkmcnt(0)
	v_cmp_gt_u64_e32 vcc, s[16:17], v[2:3]
	s_and_saveexec_b64 s[2:3], vcc
	s_cbranch_execz .LBB0_2
; %bb.1:
	s_load_dwordx4 s[12:15], s[0:1], 0x18
	s_load_dwordx4 s[8:11], s[0:1], 0x0
	v_mov_b32_e32 v6, s18
	v_mov_b32_e32 v7, s19
	v_mul_u32_u24_e32 v84, 0xe0, v34
	s_waitcnt lgkmcnt(0)
	s_load_dwordx4 s[4:7], s[14:15], 0x0
	s_mov_b32 s20, 0x3eae86e6
	s_load_dwordx4 s[12:15], s[12:13], 0x0
	s_mov_b32 s21, 0xbf08b237
	s_mov_b32 s22, s21
	s_waitcnt lgkmcnt(0)
	v_mad_u64_u32 v[4:5], s[2:3], s6, v2, 0
	v_mad_u64_u32 v[8:9], s[2:3], s14, v2, 0
	v_mov_b32_e32 v10, v5
	v_mad_u64_u32 v[32:33], s[2:3], s7, v2, v[10:11]
	v_mov_b32_e32 v10, v9
	v_mad_u64_u32 v[10:11], s[2:3], s15, v2, v[10:11]
	v_and_b32_e32 v2, 15, v0
	v_mad_u64_u32 v[0:1], s[6:7], s12, v2, 0
	v_mov_b32_e32 v9, v10
	v_mov_b32_e32 v10, v1
	v_mad_u64_u32 v[10:11], s[6:7], s13, v2, v[10:11]
	s_add_u32 s2, s8, 0x700
	v_mov_b32_e32 v1, v10
	v_lshl_add_u64 v[6:7], v[8:9], 3, v[6:7]
	s_addc_u32 s3, s9, 0
	v_lshl_add_u64 v[0:1], v[0:1], 3, v[6:7]
	s_lshl_b64 s[6:7], s[12:13], 8
	global_load_dwordx2 v[36:37], v[0:1], off
	v_lshlrev_b32_e32 v105, 3, v2
	v_lshl_add_u64 v[0:1], v[0:1], 0, s[6:7]
	global_load_dwordx2 v[22:23], v105, s[8:9]
	global_load_dwordx2 v[16:17], v105, s[8:9] offset:256
	global_load_dwordx2 v[38:39], v[0:1], off
	v_lshl_add_u64 v[0:1], v[0:1], 0, s[6:7]
	global_load_dwordx2 v[10:11], v105, s[8:9] offset:512
	global_load_dwordx2 v[40:41], v[0:1], off
	v_lshl_add_u64 v[0:1], v[0:1], 0, s[6:7]
	v_lshl_add_u64 v[6:7], v[0:1], 0, s[6:7]
	global_load_dwordx2 v[12:13], v105, s[8:9] offset:768
	global_load_dwordx2 v[42:43], v[0:1], off
	global_load_dwordx2 v[44:45], v[6:7], off
	global_load_dwordx2 v[8:9], v105, s[8:9] offset:1024
	v_lshl_add_u64 v[0:1], v[6:7], 0, s[6:7]
	v_lshl_add_u64 v[14:15], v[0:1], 0, s[6:7]
	v_mov_b32_e32 v33, 0xfffffa80
	s_mulk_i32 s13, 0xfa80
	global_load_dwordx2 v[46:47], v[0:1], off
	global_load_dwordx2 v[6:7], v105, s[8:9] offset:1280
	v_mad_u64_u32 v[20:21], s[14:15], s12, v33, v[14:15]
	s_sub_i32 s12, s13, s12
	v_add_u32_e32 v21, s12, v21
	global_load_dwordx2 v[48:49], v[14:15], off
	global_load_dwordx2 v[0:1], v105, s[8:9] offset:1536
	global_load_dwordx2 v[50:51], v[20:21], off
	s_nop 0
	global_load_dwordx2 v[14:15], v105, s[8:9] offset:128
	global_load_dwordx2 v[18:19], v105, s[8:9] offset:384
	v_lshl_add_u64 v[20:21], v[20:21], 0, s[6:7]
	global_load_dwordx2 v[52:53], v[20:21], off
	v_lshl_add_u64 v[26:27], v[20:21], 0, s[6:7]
	global_load_dwordx2 v[54:55], v[26:27], off
	global_load_dwordx2 v[20:21], v105, s[8:9] offset:640
	global_load_dwordx2 v[24:25], v105, s[8:9] offset:896
	v_lshl_add_u64 v[26:27], v[26:27], 0, s[6:7]
	global_load_dwordx2 v[56:57], v[26:27], off
	v_lshl_add_u64 v[30:31], v[26:27], 0, s[6:7]
	global_load_dwordx2 v[26:27], v105, s[8:9] offset:1152
	global_load_dwordx2 v[58:59], v[30:31], off
	global_load_dwordx2 v[28:29], v105, s[8:9] offset:1408
	v_lshl_add_u64 v[60:61], v[30:31], 0, s[6:7]
	global_load_dwordx2 v[62:63], v[60:61], off
	global_load_dwordx2 v[30:31], v105, s[8:9] offset:1664
	v_lshl_add_u64 v[60:61], v[60:61], 0, s[6:7]
	global_load_dwordx2 v[60:61], v[60:61], off
	v_or_b32_e32 v5, v84, v2
	v_lshlrev_b32_e32 v5, 3, v5
	v_lshl_or_b32 v104, v84, 3, v105
	s_mov_b32 s23, s20
	s_mov_b32 s18, 0x3ee1c552
	;; [unrolled: 1-line block ×9, first 2 shown]
	v_or_b32_e32 v76, 16, v2
	v_or_b32_e32 v101, 32, v2
	;; [unrolled: 1-line block ×3, first 2 shown]
	v_mul_lo_u16_e32 v102, 37, v101
	v_lshrrev_b16_e32 v103, 8, v102
	v_mul_lo_u16_e32 v115, 37, v76
	v_or_b32_e32 v79, 0x60, v2
	v_lshrrev_b16_e32 v109, 8, v115
	v_mul_lo_u16_e32 v80, 0x93, v79
	v_lshrrev_b16_e32 v114, 10, v80
	v_lshrrev_b16_e32 v133, 11, v80
	v_lshrrev_b16_e32 v127, 9, v102
	v_cmp_gt_u32_e32 vcc, 14, v2
	v_lshrrev_b16_e32 v131, 9, v115
	s_load_dwordx2 s[0:1], s[0:1], 0x38
	s_waitcnt vmcnt(26)
	v_mul_f32_e32 v34, v37, v23
	v_mul_f32_e32 v35, v36, v23
	v_fmac_f32_e32 v34, v36, v22
	v_fma_f32 v35, v37, v22, -v35
	s_waitcnt vmcnt(24)
	v_mul_f32_e32 v36, v39, v17
	v_mul_f32_e32 v37, v38, v17
	v_fmac_f32_e32 v36, v38, v16
	v_fma_f32 v37, v39, v16, -v37
	;; [unrolled: 5-line block ×4, first 2 shown]
	ds_write_b64 v5, v[34:35]
	s_waitcnt vmcnt(12)
	v_mul_f32_e32 v46, v51, v15
	v_mul_f32_e32 v47, v50, v15
	v_fmac_f32_e32 v46, v50, v14
	v_fma_f32 v47, v51, v14, -v47
	v_mul_f32_e32 v34, v41, v11
	v_mul_f32_e32 v35, v40, v11
	ds_write2_b64 v104, v[46:47], v[36:37] offset0:16 offset1:32
	s_waitcnt vmcnt(10)
	v_mul_f32_e32 v36, v53, v19
	v_mul_f32_e32 v37, v52, v19
	v_fmac_f32_e32 v34, v40, v10
	v_fma_f32 v35, v41, v10, -v35
	v_fmac_f32_e32 v36, v52, v18
	v_fma_f32 v37, v53, v18, -v37
	ds_write2_b64 v104, v[36:37], v[34:35] offset0:48 offset1:64
	s_waitcnt vmcnt(8)
	v_mul_f32_e32 v34, v55, v21
	v_mul_f32_e32 v35, v54, v21
	v_fmac_f32_e32 v34, v54, v20
	v_fma_f32 v35, v55, v20, -v35
	v_mul_f32_e32 v40, v45, v9
	v_mul_f32_e32 v41, v44, v9
	ds_write2_b64 v104, v[34:35], v[38:39] offset0:80 offset1:96
	s_waitcnt vmcnt(6)
	v_mul_f32_e32 v34, v57, v25
	v_mul_f32_e32 v35, v56, v25
	v_fmac_f32_e32 v40, v44, v8
	v_fma_f32 v41, v45, v8, -v41
	v_fmac_f32_e32 v34, v56, v24
	v_fma_f32 v35, v57, v24, -v35
	ds_write2_b64 v104, v[34:35], v[40:41] offset0:112 offset1:128
	;; [unrolled: 16-line block ×3, first 2 shown]
	s_waitcnt vmcnt(0)
	v_mul_f32_e32 v34, v61, v31
	v_mul_f32_e32 v35, v60, v31
	v_fmac_f32_e32 v34, v60, v30
	v_fma_f32 v35, v61, v30, -v35
	ds_write_b64 v104, v[34:35] offset:1664
	s_waitcnt lgkmcnt(0)
	; wave barrier
	s_waitcnt lgkmcnt(0)
	ds_read2_b64 v[34:37], v104 offset0:16 offset1:32
	ds_read2_b64 v[38:41], v104 offset0:48 offset1:64
	;; [unrolled: 1-line block ×6, first 2 shown]
	s_waitcnt lgkmcnt(2)
	v_pk_add_f32 v[58:59], v[36:37], v[48:49]
	s_waitcnt lgkmcnt(1)
	v_pk_add_f32 v[60:61], v[40:41], v[52:53]
	s_waitcnt lgkmcnt(0)
	v_pk_add_f32 v[62:63], v[44:45], v[56:57]
	v_pk_add_f32 v[36:37], v[36:37], v[48:49] neg_lo:[0,1] neg_hi:[0,1]
	v_pk_add_f32 v[44:45], v[56:57], v[44:45] neg_lo:[0,1] neg_hi:[0,1]
	;; [unrolled: 1-line block ×3, first 2 shown]
	v_mov_b32_e32 v48, v45
	v_mov_b32_e32 v49, v36
	;; [unrolled: 1-line block ×4, first 2 shown]
	v_pk_add_f32 v[48:49], v[48:49], v[52:53] neg_lo:[0,1] neg_hi:[0,1]
	v_mov_b32_e32 v52, v37
	v_mov_b32_e32 v56, v45
	;; [unrolled: 1-line block ×3, first 2 shown]
	v_pk_add_f32 v[52:53], v[52:53], v[56:57] neg_lo:[0,1] neg_hi:[0,1]
	ds_read_b64 v[56:57], v5
	v_pk_add_f32 v[64:65], v[60:61], v[58:59]
	v_mov_b32_e32 v66, v62
	v_mov_b32_e32 v67, v59
	v_mov_b32_e32 v68, v60
	v_mov_b32_e32 v69, v63
	v_pk_add_f32 v[44:45], v[44:45], v[40:41]
	v_pk_add_f32 v[64:65], v[62:63], v[64:65]
	v_pk_add_f32 v[66:67], v[66:67], v[68:69] neg_lo:[0,1] neg_hi:[0,1]
	v_mov_b32_e32 v68, v58
	v_mov_b32_e32 v63, v61
	v_pk_add_f32 v[44:45], v[44:45], v[36:37]
	v_pk_mul_f32 v[48:49], v[48:49], s[22:23]
	v_pk_add_f32 v[62:63], v[68:69], v[62:63] neg_lo:[0,1] neg_hi:[0,1]
	v_pk_mul_f32 v[68:69], v[44:45], s[18:19] op_sel_hi:[1,0]
	v_pk_fma_f32 v[70:71], v[52:53], s[20:21], v[48:49]
	v_pk_mul_f32 v[66:67], v[66:67], s[14:15]
	v_pk_add_f32 v[68:69], v[68:69], v[70:71] op_sel:[1,0] op_sel_hi:[0,1]
	ds_read_b64 v[70:71], v104 offset:1664
	s_waitcnt lgkmcnt(1)
	v_pk_add_f32 v[56:57], v[56:57], v[64:65]
	v_pk_fma_f32 v[72:73], v[62:63], s[6:7], v[66:67]
	v_pk_fma_f32 v[64:65], v[64:65], s[12:13], v[56:57] op_sel_hi:[1,0,1] neg_lo:[1,0,0] neg_hi:[1,0,0]
	v_pk_add_f32 v[36:37], v[40:41], v[36:37] neg_lo:[0,1] neg_hi:[0,1]
	v_pk_add_f32 v[72:73], v[72:73], v[64:65]
	v_pk_mul_f32 v[40:41], v[62:63], s[6:7]
	v_pk_add_f32 v[74:75], v[72:73], v[68:69]
	v_pk_add_f32 v[68:69], v[72:73], v[68:69] neg_lo:[0,1] neg_hi:[0,1]
	v_mul_u32_u24_e32 v72, 7, v2
	v_add_lshl_u32 v107, v84, v72, 3
	v_mov_b32_e32 v72, v74
	v_mov_b32_e32 v73, v69
	v_pk_mul_f32 v[52:53], v[52:53], s[20:21]
	s_waitcnt lgkmcnt(0)
	; wave barrier
	s_waitcnt lgkmcnt(0)
	ds_write2_b64 v107, v[56:57], v[72:73] offset1:1
	v_pk_add_f32 v[56:57], v[60:61], v[58:59] neg_lo:[0,1] neg_hi:[0,1]
	v_mov_b32_e32 v58, v40
	v_mov_b32_e32 v59, v67
	;; [unrolled: 1-line block ×7, first 2 shown]
	v_pk_fma_f32 v[58:59], v[56:57], s[16:17], v[58:59] op_sel_hi:[1,0,1] neg_lo:[1,0,1] neg_hi:[1,0,1]
	v_pk_fma_f32 v[60:61], v[36:37], s[24:25], v[60:61] op_sel_hi:[1,0,1] neg_lo:[1,0,1] neg_hi:[1,0,1]
	;; [unrolled: 1-line block ×4, first 2 shown]
	v_pk_add_f32 v[58:59], v[58:59], v[64:65]
	v_pk_fma_f32 v[60:61], v[44:45], s[18:19], v[60:61] op_sel_hi:[1,0,1]
	v_pk_add_f32 v[40:41], v[40:41], v[64:65]
	v_pk_fma_f32 v[36:37], v[44:45], s[18:19], v[36:37] op_sel_hi:[1,0,1]
	v_pk_add_f32 v[62:63], v[58:59], v[60:61] op_sel:[0,1] op_sel_hi:[1,0]
	v_pk_add_f32 v[58:59], v[58:59], v[60:61] op_sel:[0,1] op_sel_hi:[1,0] neg_lo:[0,1] neg_hi:[0,1]
	v_pk_add_f32 v[44:45], v[40:41], v[36:37] op_sel:[0,1] op_sel_hi:[1,0] neg_lo:[0,1] neg_hi:[0,1]
	v_pk_add_f32 v[36:37], v[40:41], v[36:37] op_sel:[0,1] op_sel_hi:[1,0]
	v_mov_b32_e32 v40, v62
	v_mov_b32_e32 v41, v59
	;; [unrolled: 1-line block ×6, first 2 shown]
	ds_write2_b64 v107, v[40:41], v[48:49] offset0:2 offset1:3
	v_pk_add_f32 v[40:41], v[38:39], v[70:71]
	ds_write2_b64 v107, v[36:37], v[58:59] offset0:4 offset1:5
	v_pk_add_f32 v[36:37], v[42:43], v[46:47]
	v_pk_add_f32 v[44:45], v[54:55], v[50:51]
	v_mul_u32_u24_e32 v52, 7, v76
	v_pk_add_f32 v[48:49], v[36:37], v[40:41]
	v_add_lshl_u32 v106, v84, v52, 3
	v_pk_add_f32 v[38:39], v[38:39], v[70:71] neg_lo:[0,1] neg_hi:[0,1]
	v_pk_add_f32 v[42:43], v[42:43], v[46:47] neg_lo:[0,1] neg_hi:[0,1]
	;; [unrolled: 1-line block ×3, first 2 shown]
	v_mov_b32_e32 v50, v44
	v_mov_b32_e32 v51, v41
	;; [unrolled: 1-line block ×4, first 2 shown]
	v_pk_add_f32 v[48:49], v[44:45], v[48:49]
	v_pk_add_f32 v[50:51], v[50:51], v[52:53] neg_lo:[0,1] neg_hi:[0,1]
	v_mov_b32_e32 v52, v40
	v_mov_b32_e32 v45, v37
	;; [unrolled: 1-line block ×6, first 2 shown]
	v_pk_add_f32 v[44:45], v[52:53], v[44:45] neg_lo:[0,1] neg_hi:[0,1]
	v_pk_add_f32 v[52:53], v[46:47], v[42:43]
	v_pk_add_f32 v[54:55], v[54:55], v[56:57] neg_lo:[0,1] neg_hi:[0,1]
	v_mov_b32_e32 v56, v39
	v_mov_b32_e32 v46, v47
	;; [unrolled: 1-line block ×3, first 2 shown]
	v_pk_add_f32 v[34:35], v[34:35], v[48:49]
	v_pk_add_f32 v[46:47], v[56:57], v[46:47] neg_lo:[0,1] neg_hi:[0,1]
	v_pk_add_f32 v[52:53], v[52:53], v[38:39]
	v_pk_mul_f32 v[50:51], v[50:51], s[14:15]
	v_pk_mul_f32 v[54:55], v[54:55], s[22:23]
	;; [unrolled: 1-line block ×3, first 2 shown]
	v_pk_mul_f32 v[58:59], v[52:53], s[18:19] op_sel_hi:[1,0]
	v_pk_mul_f32 v[60:61], v[46:47], s[20:21]
	v_pk_fma_f32 v[48:49], v[48:49], s[12:13], v[34:35] op_sel_hi:[1,0,1] neg_lo:[1,0,0] neg_hi:[1,0,0]
	v_pk_fma_f32 v[44:45], v[44:45], s[6:7], v[50:51]
	v_pk_fma_f32 v[46:47], v[46:47], s[20:21], v[54:55]
	v_pk_add_f32 v[44:45], v[44:45], v[48:49]
	v_pk_add_f32 v[46:47], v[58:59], v[46:47] op_sel:[1,0] op_sel_hi:[0,1]
	v_pk_add_f32 v[58:59], v[44:45], v[46:47]
	v_pk_add_f32 v[44:45], v[44:45], v[46:47] neg_lo:[0,1] neg_hi:[0,1]
	v_mov_b32_e32 v69, v75
	v_mov_b32_e32 v46, v58
	;; [unrolled: 1-line block ×3, first 2 shown]
	ds_write_b64 v107, v[68:69] offset:48
	ds_write2_b64 v106, v[34:35], v[46:47] offset1:1
	v_pk_add_f32 v[34:35], v[36:37], v[40:41] neg_lo:[0,1] neg_hi:[0,1]
	v_pk_add_f32 v[36:37], v[42:43], v[38:39] neg_lo:[0,1] neg_hi:[0,1]
	v_mov_b32_e32 v38, v56
	v_mov_b32_e32 v39, v51
	v_mov_b32_e32 v40, v55
	v_mov_b32_e32 v41, v60
	v_pk_fma_f32 v[38:39], v[34:35], s[16:17], v[38:39] op_sel_hi:[1,0,1] neg_lo:[1,0,1] neg_hi:[1,0,1]
	v_pk_fma_f32 v[40:41], v[36:37], s[24:25], v[40:41] op_sel_hi:[1,0,1] neg_lo:[1,0,1] neg_hi:[1,0,1]
	v_pk_add_f32 v[38:39], v[38:39], v[48:49]
	v_pk_fma_f32 v[40:41], v[52:53], s[18:19], v[40:41] op_sel_hi:[1,0,1]
	v_mov_b32_e32 v51, v57
	v_pk_add_f32 v[42:43], v[38:39], v[40:41] op_sel:[0,1] op_sel_hi:[1,0]
	v_pk_add_f32 v[38:39], v[38:39], v[40:41] op_sel:[0,1] op_sel_hi:[1,0] neg_lo:[0,1] neg_hi:[0,1]
	v_mov_b32_e32 v40, v61
	v_mov_b32_e32 v41, v54
	v_pk_fma_f32 v[34:35], v[34:35], s[16:17], v[50:51] op_sel_hi:[1,0,1] neg_lo:[0,0,1] neg_hi:[0,0,1]
	v_pk_fma_f32 v[36:37], v[36:37], s[24:25], v[40:41] op_sel_hi:[1,0,1] neg_lo:[0,0,1] neg_hi:[0,0,1]
	v_pk_add_f32 v[34:35], v[34:35], v[48:49]
	v_pk_fma_f32 v[36:37], v[52:53], s[18:19], v[36:37] op_sel_hi:[1,0,1]
	v_or_b32_e32 v62, 64, v2
	v_or_b32_e32 v63, 0x50, v2
	v_pk_add_f32 v[40:41], v[34:35], v[36:37] op_sel:[0,1] op_sel_hi:[1,0] neg_lo:[0,1] neg_hi:[0,1]
	v_pk_add_f32 v[34:35], v[34:35], v[36:37] op_sel:[0,1] op_sel_hi:[1,0]
	v_mul_lo_u16_e32 v66, 0x93, v62
	v_mul_lo_u16_e32 v67, 0x93, v63
	v_mov_b32_e32 v37, v39
	v_mov_b32_e32 v47, v35
	;; [unrolled: 1-line block ×4, first 2 shown]
	v_lshrrev_b16_e32 v77, 10, v66
	v_lshrrev_b16_e32 v81, 10, v67
	ds_write2_b64 v106, v[34:35], v[38:39] offset0:4 offset1:5
	v_mul_lo_u16_e32 v34, 7, v77
	v_mul_lo_u16_e32 v35, 7, v81
	v_mov_b32_e32 v64, 3
	v_sub_u16_e32 v85, v63, v35
	v_sub_u16_e32 v100, v62, v34
	v_mov_b32_e32 v36, v42
	v_mov_b32_e32 v46, v40
	;; [unrolled: 1-line block ×3, first 2 shown]
	v_lshlrev_b32_sdwa v35, v64, v85 dst_sel:DWORD dst_unused:UNUSED_PAD src0_sel:DWORD src1_sel:BYTE_0
	v_lshlrev_b32_sdwa v34, v64, v100 dst_sel:DWORD dst_unused:UNUSED_PAD src0_sel:DWORD src1_sel:BYTE_0
	v_mul_lo_u16_e32 v65, 37, v78
	ds_write2_b64 v106, v[36:37], v[46:47] offset0:2 offset1:3
	ds_write_b64 v106, v[44:45] offset:48
	s_waitcnt lgkmcnt(0)
	; wave barrier
	s_waitcnt lgkmcnt(0)
	global_load_dwordx2 v[40:41], v35, s[10:11]
	global_load_dwordx2 v[44:45], v34, s[10:11]
	v_mul_lo_u16_e32 v34, 7, v103
	v_lshrrev_b16_e32 v111, 8, v65
	v_sub_u16_e32 v110, v101, v34
	v_mul_lo_u16_e32 v34, 7, v111
	v_mul_lo_u16_e32 v35, 7, v109
	v_sub_u16_e32 v112, v78, v34
	v_sub_u16_e32 v113, v76, v35
	v_mul_lo_u16_e32 v46, 7, v114
	v_lshlrev_b32_sdwa v34, v64, v112 dst_sel:DWORD dst_unused:UNUSED_PAD src0_sel:DWORD src1_sel:BYTE_0
	v_lshlrev_b32_sdwa v35, v64, v113 dst_sel:DWORD dst_unused:UNUSED_PAD src0_sel:DWORD src1_sel:BYTE_0
	v_sub_u16_e32 v116, v79, v46
	global_load_dwordx2 v[38:39], v34, s[10:11]
	global_load_dwordx2 v[42:43], v35, s[10:11]
	v_lshlrev_b32_sdwa v34, v64, v110 dst_sel:DWORD dst_unused:UNUSED_PAD src0_sel:DWORD src1_sel:BYTE_0
	v_lshlrev_b32_sdwa v46, v64, v116 dst_sel:DWORD dst_unused:UNUSED_PAD src0_sel:DWORD src1_sel:BYTE_0
	global_load_dwordx2 v[36:37], v34, s[10:11]
	ds_read2_b64 v[48:51], v104 offset0:176 offset1:192
	global_load_dwordx2 v[46:47], v46, s[10:11]
	v_mul_lo_u16_e32 v34, 37, v2
	v_lshrrev_b16_e32 v58, 8, v34
	v_mul_lo_u16_e32 v34, 7, v58
	v_sub_u16_e32 v59, v2, v34
	v_lshlrev_b32_sdwa v34, v64, v59 dst_sel:DWORD dst_unused:UNUSED_PAD src0_sel:DWORD src1_sel:BYTE_0
	global_load_dwordx2 v[34:35], v34, s[10:11]
	ds_read2_b64 v[52:55], v104 offset0:144 offset1:160
	ds_read_b64 v[94:95], v5
	v_lshrrev_b16_e32 v129, 9, v65
	v_lshrrev_b16_e32 v142, 10, v65
	v_mul_lo_u16_e32 v65, 28, v142
	v_sub_u16_e32 v143, v78, v65
	s_waitcnt vmcnt(6) lgkmcnt(2)
	v_pk_mul_f32 v[56:57], v[50:51], v[40:41] op_sel:[0,1]
	s_nop 0
	v_pk_fma_f32 v[60:61], v[50:51], v[40:41], v[56:57] op_sel:[0,0,1] op_sel_hi:[1,1,0] neg_lo:[0,0,1] neg_hi:[0,0,1]
	v_pk_fma_f32 v[68:69], v[50:51], v[40:41], v[56:57] op_sel:[0,0,1] op_sel_hi:[1,0,0]
	s_waitcnt vmcnt(5)
	v_pk_mul_f32 v[50:51], v[48:49], v[44:45] op_sel:[0,1]
	v_mad_legacy_u16 v61, v109, 14, v113
	v_pk_fma_f32 v[70:71], v[48:49], v[44:45], v[50:51] op_sel:[0,0,1] op_sel_hi:[1,1,0] neg_lo:[0,0,1] neg_hi:[0,0,1]
	v_pk_fma_f32 v[72:73], v[48:49], v[44:45], v[50:51] op_sel:[0,0,1] op_sel_hi:[1,0,0]
	ds_read2_b64 v[48:51], v104 offset0:112 offset1:128
	v_and_b32_e32 v61, 0xff, v61
	v_add_lshl_u32 v109, v84, v61, 3
	v_mad_legacy_u16 v61, v103, 14, v110
	v_and_b32_e32 v61, 0xff, v61
	v_add_lshl_u32 v110, v84, v61, 3
	s_waitcnt vmcnt(4) lgkmcnt(2)
	v_pk_mul_f32 v[56:57], v[54:55], v[38:39] op_sel:[0,1]
	v_mov_b32_e32 v71, v73
	v_pk_fma_f32 v[74:75], v[54:55], v[38:39], v[56:57] op_sel:[0,0,1] op_sel_hi:[1,1,0] neg_lo:[0,0,1] neg_hi:[0,0,1]
	v_pk_fma_f32 v[82:83], v[54:55], v[38:39], v[56:57] op_sel:[0,0,1] op_sel_hi:[1,0,0]
	s_waitcnt vmcnt(2)
	v_pk_mul_f32 v[54:55], v[52:53], v[36:37] op_sel:[0,1]
	v_mov_b32_e32 v75, v83
	v_pk_fma_f32 v[86:87], v[52:53], v[36:37], v[54:55] op_sel:[0,0,1] op_sel_hi:[1,1,0] neg_lo:[0,0,1] neg_hi:[0,0,1]
	v_pk_fma_f32 v[88:89], v[52:53], v[36:37], v[54:55] op_sel:[0,0,1] op_sel_hi:[1,0,0]
	s_waitcnt lgkmcnt(0)
	v_pk_mul_f32 v[52:53], v[50:51], v[42:43] op_sel:[0,1]
	v_mov_b32_e32 v87, v89
	v_pk_fma_f32 v[90:91], v[50:51], v[42:43], v[52:53] op_sel:[0,0,1] op_sel_hi:[1,1,0] neg_lo:[0,0,1] neg_hi:[0,0,1]
	v_pk_fma_f32 v[92:93], v[50:51], v[42:43], v[52:53] op_sel:[0,0,1] op_sel_hi:[1,0,0]
	s_waitcnt vmcnt(0)
	v_pk_mul_f32 v[50:51], v[48:49], v[34:35] op_sel:[0,1]
	v_mov_b32_e32 v91, v93
	v_pk_fma_f32 v[52:53], v[48:49], v[34:35], v[50:51] op_sel:[0,0,1] op_sel_hi:[1,1,0] neg_lo:[0,0,1] neg_hi:[0,0,1]
	v_pk_fma_f32 v[48:49], v[48:49], v[34:35], v[50:51] op_sel:[0,0,1] op_sel_hi:[1,0,0]
	v_mov_b32_e32 v61, v69
	v_mad_legacy_u16 v48, v58, 14, v59
	v_mov_b32_e32 v53, v49
	v_and_b32_e32 v48, 0xff, v48
	v_add_lshl_u32 v108, v84, v48, 3
	v_pk_add_f32 v[96:97], v[94:95], v[52:53] neg_lo:[0,1] neg_hi:[0,1]
	ds_read_b64 v[98:99], v104 offset:1664
	ds_read2_b64 v[48:51], v104 offset0:80 offset1:96
	ds_read2_b64 v[52:55], v104 offset0:48 offset1:64
	;; [unrolled: 1-line block ×3, first 2 shown]
	v_pk_fma_f32 v[94:95], v[94:95], 2.0, v[96:97] op_sel_hi:[1,0,1] neg_lo:[0,0,1] neg_hi:[0,0,1]
	s_waitcnt lgkmcnt(0)
	; wave barrier
	s_waitcnt lgkmcnt(0)
	ds_write2_b64 v108, v[94:95], v[96:97] offset1:7
	v_pk_add_f32 v[90:91], v[56:57], v[90:91] neg_lo:[0,1] neg_hi:[0,1]
	s_nop 0
	v_pk_fma_f32 v[56:57], v[56:57], 2.0, v[90:91] op_sel_hi:[1,0,1] neg_lo:[0,0,1] neg_hi:[0,0,1]
	ds_write2_b64 v109, v[56:57], v[90:91] offset1:7
	v_pk_add_f32 v[56:57], v[58:59], v[86:87] neg_lo:[0,1] neg_hi:[0,1]
	s_nop 0
	v_pk_fma_f32 v[58:59], v[58:59], 2.0, v[56:57] op_sel_hi:[1,0,1] neg_lo:[0,0,1] neg_hi:[0,0,1]
	ds_write2_b64 v110, v[58:59], v[56:57] offset1:7
	v_mad_legacy_u16 v56, v111, 14, v112
	v_and_b32_e32 v56, 0xff, v56
	v_add_lshl_u32 v111, v84, v56, 3
	v_pk_add_f32 v[56:57], v[52:53], v[74:75] neg_lo:[0,1] neg_hi:[0,1]
	v_mul_lo_u16_e32 v58, 14, v133
	v_pk_fma_f32 v[52:53], v[52:53], 2.0, v[56:57] op_sel_hi:[1,0,1] neg_lo:[0,0,1] neg_hi:[0,0,1]
	ds_write2_b64 v111, v[52:53], v[56:57] offset1:7
	v_mul_lo_u16_e32 v56, 14, v77
	v_pk_add_f32 v[52:53], v[54:55], v[70:71] neg_lo:[0,1] neg_hi:[0,1]
	v_add_u32_sdwa v56, v56, v100 dst_sel:DWORD dst_unused:UNUSED_PAD src0_sel:DWORD src1_sel:BYTE_0
	v_pk_fma_f32 v[54:55], v[54:55], 2.0, v[52:53] op_sel_hi:[1,0,1] neg_lo:[0,0,1] neg_hi:[0,0,1]
	v_add_lshl_u32 v112, v84, v56, 3
	ds_write2_b64 v112, v[54:55], v[52:53] offset1:7
	v_mul_lo_u16_e32 v52, 14, v81
	v_add_u32_sdwa v52, v52, v85 dst_sel:DWORD dst_unused:UNUSED_PAD src0_sel:DWORD src1_sel:BYTE_0
	v_add_lshl_u32 v113, v84, v52, 3
	v_pk_add_f32 v[52:53], v[48:49], v[60:61] neg_lo:[0,1] neg_hi:[0,1]
	v_lshrrev_b16_e32 v77, 11, v66
	v_pk_fma_f32 v[48:49], v[48:49], 2.0, v[52:53] op_sel_hi:[1,0,1] neg_lo:[0,0,1] neg_hi:[0,0,1]
	ds_write2_b64 v113, v[48:49], v[52:53] offset1:7
	v_pk_mul_f32 v[48:49], v[98:99], v[46:47] op_sel:[0,1]
	v_lshrrev_b16_e32 v85, 11, v67
	v_pk_fma_f32 v[52:53], v[98:99], v[46:47], v[48:49] op_sel:[0,0,1] op_sel_hi:[1,1,0] neg_lo:[0,0,1] neg_hi:[0,0,1]
	v_pk_fma_f32 v[48:49], v[98:99], v[46:47], v[48:49] op_sel:[0,0,1] op_sel_hi:[1,0,0]
	v_sub_u16_e32 v134, v79, v58
	v_mov_b32_e32 v53, v49
	v_pk_add_f32 v[48:49], v[50:51], v[52:53] neg_lo:[0,1] neg_hi:[0,1]
	v_mul_lo_u16_e32 v52, 14, v114
	v_add_u32_sdwa v52, v52, v116 dst_sel:DWORD dst_unused:UNUSED_PAD src0_sel:DWORD src1_sel:BYTE_0
	v_pk_fma_f32 v[50:51], v[50:51], 2.0, v[48:49] op_sel_hi:[1,0,1] neg_lo:[0,0,1] neg_hi:[0,0,1]
	v_add_lshl_u32 v114, v84, v52, 3
	ds_write2_b64 v114, v[50:51], v[48:49] offset1:7
	v_mul_lo_u16_e32 v48, 14, v77
	v_sub_u16_e32 v81, v62, v48
	v_mul_lo_u16_e32 v48, 14, v85
	v_sub_u16_e32 v126, v63, v48
	v_lshlrev_b32_sdwa v48, v64, v126 dst_sel:DWORD dst_unused:UNUSED_PAD src0_sel:DWORD src1_sel:BYTE_0
	v_lshlrev_b32_sdwa v50, v64, v81 dst_sel:DWORD dst_unused:UNUSED_PAD src0_sel:DWORD src1_sel:BYTE_0
	;; [unrolled: 1-line block ×3, first 2 shown]
	s_waitcnt lgkmcnt(0)
	; wave barrier
	s_waitcnt lgkmcnt(0)
	global_load_dwordx2 v[48:49], v48, s[10:11] offset:56
	ds_read2_b64 v[68:71], v104 offset0:176 offset1:192
	global_load_dwordx2 v[60:61], v50, s[10:11] offset:56
	ds_read2_b64 v[72:75], v104 offset0:144 offset1:160
	global_load_dwordx2 v[58:59], v58, s[10:11] offset:56
	v_mul_lo_u16_e32 v50, 14, v127
	v_sub_u16_e32 v128, v101, v50
	v_mul_lo_u16_e32 v50, 14, v129
	v_sub_u16_e32 v130, v78, v50
	v_lshlrev_b32_sdwa v50, v64, v130 dst_sel:DWORD dst_unused:UNUSED_PAD src0_sel:DWORD src1_sel:BYTE_0
	global_load_dwordx2 v[54:55], v50, s[10:11] offset:56
	v_lshlrev_b32_sdwa v50, v64, v128 dst_sel:DWORD dst_unused:UNUSED_PAD src0_sel:DWORD src1_sel:BYTE_0
	global_load_dwordx2 v[52:53], v50, s[10:11] offset:56
	v_lshl_add_u64 v[50:51], v[2:3], 0, -14
	v_cndmask_b32_e64 v83, v51, 0, vcc
	v_mul_lo_u16_e32 v51, 14, v131
	v_sub_u16_e32 v132, v76, v51
	v_lshlrev_b32_sdwa v51, v64, v132 dst_sel:DWORD dst_unused:UNUSED_PAD src0_sel:DWORD src1_sel:BYTE_0
	v_cndmask_b32_e32 v82, v50, v2, vcc
	global_load_dwordx2 v[56:57], v51, s[10:11] offset:56
	v_lshl_add_u64 v[50:51], v[82:83], 3, s[10:11]
	global_load_dwordx2 v[50:51], v[50:51], off offset:56
	v_cmp_lt_u32_e32 vcc, 13, v2
	v_mul_lo_u16_e32 v77, 28, v77
	v_add_u32_sdwa v77, v77, v81 dst_sel:DWORD dst_unused:UNUSED_PAD src0_sel:DWORD src1_sel:BYTE_0
	v_lshrrev_b16_e32 v66, 12, v66
	v_mul_lo_u16_e32 v66, 28, v66
	v_sub_u16_e32 v66, v62, v66
	v_and_b32_e32 v141, 0xff, v66
	v_lshlrev_b32_e32 v66, 3, v141
	s_waitcnt vmcnt(6) lgkmcnt(1)
	v_pk_mul_f32 v[86:87], v[70:71], v[48:49] op_sel:[0,1]
	s_nop 0
	v_pk_fma_f32 v[90:91], v[70:71], v[48:49], v[86:87] op_sel:[0,0,1] op_sel_hi:[1,1,0] neg_lo:[0,0,1] neg_hi:[0,0,1]
	v_pk_fma_f32 v[92:93], v[70:71], v[48:49], v[86:87] op_sel:[0,0,1] op_sel_hi:[1,0,0]
	s_waitcnt vmcnt(5)
	v_pk_mul_f32 v[70:71], v[68:69], v[60:61] op_sel:[0,1]
	v_mov_b32_e32 v91, v93
	v_pk_fma_f32 v[94:95], v[68:69], v[60:61], v[70:71] op_sel:[0,0,1] op_sel_hi:[1,1,0] neg_lo:[0,0,1] neg_hi:[0,0,1]
	v_pk_fma_f32 v[96:97], v[68:69], v[60:61], v[70:71] op_sel:[0,0,1] op_sel_hi:[1,0,0]
	ds_read2_b64 v[68:71], v104 offset0:112 offset1:128
	v_mov_b32_e32 v95, v97
	s_waitcnt vmcnt(3) lgkmcnt(1)
	v_pk_mul_f32 v[86:87], v[74:75], v[54:55] op_sel:[0,1]
	s_nop 0
	v_pk_fma_f32 v[98:99], v[74:75], v[54:55], v[86:87] op_sel:[0,0,1] op_sel_hi:[1,1,0] neg_lo:[0,0,1] neg_hi:[0,0,1]
	v_pk_fma_f32 v[100:101], v[74:75], v[54:55], v[86:87] op_sel:[0,0,1] op_sel_hi:[1,0,0]
	s_waitcnt vmcnt(2)
	v_pk_mul_f32 v[74:75], v[72:73], v[52:53] op_sel:[0,1]
	v_mov_b32_e32 v99, v101
	v_pk_fma_f32 v[102:103], v[72:73], v[52:53], v[74:75] op_sel:[0,0,1] op_sel_hi:[1,1,0] neg_lo:[0,0,1] neg_hi:[0,0,1]
	v_pk_fma_f32 v[116:117], v[72:73], v[52:53], v[74:75] op_sel:[0,0,1] op_sel_hi:[1,0,0]
	s_waitcnt vmcnt(1) lgkmcnt(0)
	v_pk_mul_f32 v[72:73], v[70:71], v[56:57] op_sel:[0,1]
	s_nop 0
	v_pk_fma_f32 v[118:119], v[70:71], v[56:57], v[72:73] op_sel:[0,0,1] op_sel_hi:[1,1,0] neg_lo:[0,0,1] neg_hi:[0,0,1]
	v_pk_fma_f32 v[120:121], v[70:71], v[56:57], v[72:73] op_sel:[0,0,1] op_sel_hi:[1,0,0]
	s_waitcnt vmcnt(0)
	v_pk_mul_f32 v[70:71], v[68:69], v[50:51] op_sel:[0,1]
	v_mov_b32_e32 v119, v121
	v_pk_fma_f32 v[72:73], v[68:69], v[50:51], v[70:71] op_sel:[0,0,1] op_sel_hi:[1,1,0] neg_lo:[0,0,1] neg_hi:[0,0,1]
	v_pk_fma_f32 v[68:69], v[68:69], v[50:51], v[70:71] op_sel:[0,0,1] op_sel_hi:[1,0,0]
	ds_read_b64 v[70:71], v5
	v_cndmask_b32_e64 v68, 0, 28, vcc
	v_mov_b32_e32 v73, v69
	v_add_u32_e32 v68, v82, v68
	v_add_lshl_u32 v115, v84, v68, 3
	s_waitcnt lgkmcnt(0)
	v_pk_add_f32 v[82:83], v[70:71], v[72:73] neg_lo:[0,1] neg_hi:[0,1]
	v_mov_b32_e32 v103, v117
	v_pk_fma_f32 v[122:123], v[70:71], 2.0, v[82:83] op_sel_hi:[1,0,1] neg_lo:[0,0,1] neg_hi:[0,0,1]
	ds_read_b64 v[124:125], v104 offset:1664
	ds_read2_b64 v[68:71], v104 offset0:80 offset1:96
	ds_read2_b64 v[72:75], v104 offset0:48 offset1:64
	;; [unrolled: 1-line block ×3, first 2 shown]
	s_waitcnt lgkmcnt(0)
	; wave barrier
	s_waitcnt lgkmcnt(0)
	ds_write2_b64 v115, v[122:123], v[82:83] offset1:14
	v_mad_legacy_u16 v82, v131, 28, v132
	v_and_b32_e32 v82, 0xff, v82
	v_add_lshl_u32 v116, v84, v82, 3
	v_pk_add_f32 v[82:83], v[86:87], v[118:119] neg_lo:[0,1] neg_hi:[0,1]
	v_add_lshl_u32 v119, v84, v77, 3
	v_pk_fma_f32 v[86:87], v[86:87], 2.0, v[82:83] op_sel_hi:[1,0,1] neg_lo:[0,0,1] neg_hi:[0,0,1]
	ds_write2_b64 v116, v[86:87], v[82:83] offset1:14
	v_pk_add_f32 v[82:83], v[88:89], v[102:103] neg_lo:[0,1] neg_hi:[0,1]
	v_mov_b32_e32 v77, v3
	v_pk_fma_f32 v[86:87], v[88:89], 2.0, v[82:83] op_sel_hi:[1,0,1] neg_lo:[0,0,1] neg_hi:[0,0,1]
	v_mad_legacy_u16 v88, v127, 28, v128
	v_and_b32_e32 v88, 0xff, v88
	v_add_lshl_u32 v117, v84, v88, 3
	ds_write2_b64 v117, v[86:87], v[82:83] offset1:14
	v_mad_legacy_u16 v82, v129, 28, v130
	v_and_b32_e32 v82, 0xff, v82
	v_add_lshl_u32 v118, v84, v82, 3
	v_pk_add_f32 v[82:83], v[72:73], v[98:99] neg_lo:[0,1] neg_hi:[0,1]
	v_cmp_gt_u64_e32 vcc, 28, v[76:77]
	v_pk_fma_f32 v[72:73], v[72:73], 2.0, v[82:83] op_sel_hi:[1,0,1] neg_lo:[0,0,1] neg_hi:[0,0,1]
	ds_write2_b64 v118, v[72:73], v[82:83] offset1:14
	v_pk_add_f32 v[72:73], v[74:75], v[94:95] neg_lo:[0,1] neg_hi:[0,1]
	s_nop 0
	v_pk_fma_f32 v[74:75], v[74:75], 2.0, v[72:73] op_sel_hi:[1,0,1] neg_lo:[0,0,1] neg_hi:[0,0,1]
	ds_write2_b64 v119, v[74:75], v[72:73] offset1:14
	v_mul_lo_u16_e32 v72, 28, v85
	v_add_u32_sdwa v72, v72, v126 dst_sel:DWORD dst_unused:UNUSED_PAD src0_sel:DWORD src1_sel:BYTE_0
	v_add_lshl_u32 v120, v84, v72, 3
	v_pk_add_f32 v[72:73], v[68:69], v[90:91] neg_lo:[0,1] neg_hi:[0,1]
	v_lshrrev_b16_e32 v85, 12, v67
	v_pk_fma_f32 v[68:69], v[68:69], 2.0, v[72:73] op_sel_hi:[1,0,1] neg_lo:[0,0,1] neg_hi:[0,0,1]
	ds_write2_b64 v120, v[68:69], v[72:73] offset1:14
	v_pk_mul_f32 v[68:69], v[124:125], v[58:59] op_sel:[0,1]
	v_mul_lo_u16_e32 v62, 28, v85
	v_pk_fma_f32 v[72:73], v[124:125], v[58:59], v[68:69] op_sel:[0,0,1] op_sel_hi:[1,1,0] neg_lo:[0,0,1] neg_hi:[0,0,1]
	v_pk_fma_f32 v[68:69], v[124:125], v[58:59], v[68:69] op_sel:[0,0,1] op_sel_hi:[1,0,0]
	v_sub_u16_e32 v140, v63, v62
	v_mov_b32_e32 v73, v69
	v_pk_add_f32 v[68:69], v[70:71], v[72:73] neg_lo:[0,1] neg_hi:[0,1]
	v_mul_lo_u16_e32 v72, 28, v133
	v_add_u32_sdwa v72, v72, v134 dst_sel:DWORD dst_unused:UNUSED_PAD src0_sel:DWORD src1_sel:BYTE_0
	v_pk_fma_f32 v[70:71], v[70:71], 2.0, v[68:69] op_sel_hi:[1,0,1] neg_lo:[0,0,1] neg_hi:[0,0,1]
	v_add_lshl_u32 v121, v84, v72, 3
	v_lshlrev_b32_sdwa v62, v64, v140 dst_sel:DWORD dst_unused:UNUSED_PAD src0_sel:DWORD src1_sel:BYTE_0
	ds_write2_b64 v121, v[70:71], v[68:69] offset1:14
	s_waitcnt lgkmcnt(0)
	; wave barrier
	s_waitcnt lgkmcnt(0)
	global_load_dwordx2 v[62:63], v62, s[10:11] offset:168
	v_lshlrev_b32_sdwa v64, v64, v143 dst_sel:DWORD dst_unused:UNUSED_PAD src0_sel:DWORD src1_sel:BYTE_0
	global_load_dwordx2 v[70:71], v64, s[10:11] offset:168
	global_load_dwordx2 v[68:69], v105, s[10:11] offset:200
	;; [unrolled: 1-line block ×3, first 2 shown]
	v_lshl_add_u64 v[64:65], v[2:3], 0, -12
	global_load_dwordx2 v[66:67], v66, s[10:11] offset:168
	v_cndmask_b32_e32 v94, v64, v76, vcc
	v_cndmask_b32_e64 v95, v65, 0, vcc
	v_lshl_add_u64 v[64:65], v[94:95], 3, s[10:11]
	global_load_dwordx2 v[72:73], v[64:65], off offset:168
	v_lshrrev_b16_e32 v64, 12, v80
	v_mul_lo_u16_e32 v64, 28, v64
	v_sub_u16_e32 v64, v79, v64
	v_and_b32_e32 v79, 0xff, v64
	v_lshlrev_b32_e32 v64, 3, v79
	global_load_dwordx2 v[64:65], v64, s[10:11] offset:168
	ds_read2_b64 v[80:83], v104 offset0:176 offset1:192
	ds_read2_b64 v[86:89], v104 offset0:144 offset1:160
	ds_read_b64 v[134:135], v104 offset:1664
	v_cmp_lt_u64_e32 vcc, 27, v[76:77]
	s_waitcnt vmcnt(6) lgkmcnt(2)
	v_pk_mul_f32 v[90:91], v[82:83], v[62:63] op_sel:[0,1]
	s_nop 0
	v_pk_fma_f32 v[96:97], v[82:83], v[62:63], v[90:91] op_sel:[0,0,1] op_sel_hi:[1,1,0] neg_lo:[0,0,1] neg_hi:[0,0,1]
	v_pk_fma_f32 v[98:99], v[82:83], v[62:63], v[90:91] op_sel:[0,0,1] op_sel_hi:[1,0,0]
	s_waitcnt vmcnt(4) lgkmcnt(1)
	v_pk_mul_f32 v[90:91], v[86:87], v[68:69] op_sel:[0,1]
	v_cndmask_b32_e64 v76, 0, 56, vcc
	v_pk_fma_f32 v[124:125], v[86:87], v[68:69], v[90:91] op_sel:[0,0,1] op_sel_hi:[1,1,0] neg_lo:[0,0,1] neg_hi:[0,0,1]
	s_waitcnt vmcnt(2)
	v_pk_mul_f32 v[82:83], v[80:81], v[66:67] op_sel:[0,1]
	v_pk_fma_f32 v[122:123], v[86:87], v[68:69], v[90:91] op_sel:[0,0,1] op_sel_hi:[1,0,0]
	v_pk_fma_f32 v[100:101], v[80:81], v[66:67], v[82:83] op_sel:[0,0,1] op_sel_hi:[1,1,0] neg_lo:[0,0,1] neg_hi:[0,0,1]
	v_pk_fma_f32 v[102:103], v[80:81], v[66:67], v[82:83] op_sel:[0,0,1] op_sel_hi:[1,0,0]
	ds_read2_b64 v[80:83], v104 offset0:112 offset1:128
	ds_read_b64 v[90:91], v5
	v_pk_mul_f32 v[86:87], v[88:89], v[70:71] op_sel:[0,1]
	v_add_u32_e32 v76, v76, v94
	v_pk_fma_f32 v[126:127], v[88:89], v[70:71], v[86:87] op_sel:[0,0,1] op_sel_hi:[1,1,0] neg_lo:[0,0,1] neg_hi:[0,0,1]
	v_pk_fma_f32 v[128:129], v[88:89], v[70:71], v[86:87] op_sel:[0,0,1] op_sel_hi:[1,0,0]
	s_waitcnt lgkmcnt(1)
	v_pk_mul_f32 v[86:87], v[80:81], v[74:75] op_sel:[0,1]
	v_add_lshl_u32 v122, v84, v76, 3
	v_pk_fma_f32 v[88:89], v[80:81], v[74:75], v[86:87] op_sel:[0,0,1] op_sel_hi:[1,1,0] neg_lo:[0,0,1] neg_hi:[0,0,1]
	v_pk_fma_f32 v[80:81], v[80:81], v[74:75], v[86:87] op_sel:[0,0,1] op_sel_hi:[1,0,0]
	s_waitcnt vmcnt(1)
	v_pk_mul_f32 v[86:87], v[82:83], v[72:73] op_sel:[0,1]
	v_mov_b32_e32 v89, v81
	s_waitcnt lgkmcnt(0)
	v_pk_add_f32 v[136:137], v[90:91], v[88:89] neg_lo:[0,1] neg_hi:[0,1]
	v_pk_fma_f32 v[130:131], v[82:83], v[72:73], v[86:87] op_sel:[0,0,1] op_sel_hi:[1,1,0] neg_lo:[0,0,1] neg_hi:[0,0,1]
	v_pk_fma_f32 v[132:133], v[82:83], v[72:73], v[86:87] op_sel:[0,0,1] op_sel_hi:[1,0,0]
	v_pk_fma_f32 v[138:139], v[90:91], 2.0, v[136:137] op_sel_hi:[1,0,1] neg_lo:[0,0,1] neg_hi:[0,0,1]
	ds_read2_b64 v[80:83], v104 offset0:16 offset1:32
	ds_read2_b64 v[86:89], v104 offset0:80 offset1:96
	;; [unrolled: 1-line block ×3, first 2 shown]
	v_mov_b32_e32 v131, v133
	v_mov_b32_e32 v125, v123
	s_waitcnt lgkmcnt(2)
	v_pk_add_f32 v[76:77], v[80:81], v[130:131] neg_lo:[0,1] neg_hi:[0,1]
	s_waitcnt lgkmcnt(0)
	v_pk_fma_f32 v[80:81], v[80:81], 2.0, v[76:77] op_sel_hi:[1,0,1] neg_lo:[0,0,1] neg_hi:[0,0,1]
	; wave barrier
	ds_write2_b64 v5, v[138:139], v[136:137] offset1:28
	ds_write2_b64 v122, v[80:81], v[76:77] offset1:28
	v_pk_add_f32 v[76:77], v[82:83], v[124:125] neg_lo:[0,1] neg_hi:[0,1]
	v_mov_b32_e32 v127, v129
	v_pk_fma_f32 v[80:81], v[82:83], 2.0, v[76:77] op_sel_hi:[1,0,1] neg_lo:[0,0,1] neg_hi:[0,0,1]
	ds_write2_b64 v5, v[80:81], v[76:77] offset0:60 offset1:88
	v_mad_legacy_u16 v76, v142, 56, v143
	v_and_b32_e32 v76, 0xff, v76
	v_add_lshl_u32 v123, v84, v76, 3
	v_pk_add_f32 v[76:77], v[90:91], v[126:127] neg_lo:[0,1] neg_hi:[0,1]
	v_mov_b32_e32 v101, v103
	v_pk_fma_f32 v[80:81], v[90:91], 2.0, v[76:77] op_sel_hi:[1,0,1] neg_lo:[0,0,1] neg_hi:[0,0,1]
	ds_write2_b64 v123, v[80:81], v[76:77] offset1:28
	v_pk_add_f32 v[76:77], v[92:93], v[100:101] neg_lo:[0,1] neg_hi:[0,1]
	v_add_lshl_u32 v124, v84, v141, 3
	v_pk_fma_f32 v[80:81], v[92:93], 2.0, v[76:77] op_sel_hi:[1,0,1] neg_lo:[0,0,1] neg_hi:[0,0,1]
	ds_write2_b64 v124, v[80:81], v[76:77] offset0:112 offset1:140
	v_mul_lo_u16_e32 v76, 56, v85
	v_mov_b32_e32 v97, v99
	v_add_u32_sdwa v76, v76, v140 dst_sel:DWORD dst_unused:UNUSED_PAD src0_sel:DWORD src1_sel:BYTE_0
	v_add_lshl_u32 v125, v84, v76, 3
	v_pk_add_f32 v[76:77], v[86:87], v[96:97] neg_lo:[0,1] neg_hi:[0,1]
	v_add_lshl_u32 v126, v84, v79, 3
	v_pk_fma_f32 v[80:81], v[86:87], 2.0, v[76:77] op_sel_hi:[1,0,1] neg_lo:[0,0,1] neg_hi:[0,0,1]
	ds_write2_b64 v125, v[80:81], v[76:77] offset1:28
	s_waitcnt vmcnt(0)
	v_pk_mul_f32 v[76:77], v[134:135], v[64:65] op_sel:[0,1]
	v_mov_b32_e32 v79, v3
	v_pk_fma_f32 v[80:81], v[134:135], v[64:65], v[76:77] op_sel:[0,0,1] op_sel_hi:[1,1,0] neg_lo:[0,0,1] neg_hi:[0,0,1]
	v_pk_fma_f32 v[76:77], v[134:135], v[64:65], v[76:77] op_sel:[0,0,1] op_sel_hi:[1,0,0]
	v_lshl_add_u64 v[86:87], v[2:3], 0, -8
	v_mov_b32_e32 v81, v77
	v_pk_add_f32 v[76:77], v[88:89], v[80:81] neg_lo:[0,1] neg_hi:[0,1]
	v_cmp_gt_u64_e32 vcc, 56, v[78:79]
	v_pk_fma_f32 v[80:81], v[88:89], 2.0, v[76:77] op_sel_hi:[1,0,1] neg_lo:[0,0,1] neg_hi:[0,0,1]
	ds_write2_b64 v126, v[80:81], v[76:77] offset0:168 offset1:196
	s_waitcnt lgkmcnt(0)
	; wave barrier
	s_waitcnt lgkmcnt(0)
	global_load_dwordx2 v[76:77], v105, s[10:11] offset:392
	global_load_dwordx2 v[88:89], v105, s[10:11] offset:520
	;; [unrolled: 1-line block ×5, first 2 shown]
	v_cndmask_b32_e32 v86, v86, v78, vcc
	v_cndmask_b32_e64 v87, v87, 0, vcc
	v_lshl_add_u64 v[90:91], v[86:87], 3, s[10:11]
	global_load_dwordx2 v[96:97], v[90:91], off offset:392
	global_load_dwordx2 v[92:93], v105, s[10:11] offset:712
	ds_read2_b64 v[100:103], v104 offset0:112 offset1:128
	ds_read2_b64 v[128:131], v104 offset0:176 offset1:192
	v_mov_b32_e32 v3, 0x70
	v_cmp_lt_u64_e32 vcc, 55, v[78:79]
	s_waitcnt vmcnt(6) lgkmcnt(1)
	v_pk_mul_f32 v[90:91], v[100:101], v[76:77] op_sel:[0,1]
	s_nop 0
	v_pk_fma_f32 v[94:95], v[100:101], v[76:77], v[90:91] op_sel:[0,0,1] op_sel_hi:[1,1,0] neg_lo:[0,0,1] neg_hi:[0,0,1]
	v_pk_fma_f32 v[90:91], v[100:101], v[76:77], v[90:91] op_sel:[0,0,1] op_sel_hi:[1,0,0]
	s_waitcnt vmcnt(5)
	v_pk_mul_f32 v[100:101], v[102:103], v[88:89] op_sel:[0,1]
	s_waitcnt vmcnt(4) lgkmcnt(0)
	v_pk_mul_f32 v[132:133], v[128:129], v[82:83] op_sel:[0,1]
	v_pk_fma_f32 v[136:137], v[102:103], v[88:89], v[100:101] op_sel:[0,0,1] op_sel_hi:[1,1,0] neg_lo:[0,0,1] neg_hi:[0,0,1]
	v_pk_fma_f32 v[138:139], v[102:103], v[88:89], v[100:101] op_sel:[0,0,1] op_sel_hi:[1,0,0]
	ds_read2_b64 v[100:103], v104 offset0:144 offset1:160
	v_pk_fma_f32 v[140:141], v[128:129], v[82:83], v[132:133] op_sel:[0,0,1] op_sel_hi:[1,1,0] neg_lo:[0,0,1] neg_hi:[0,0,1]
	v_pk_fma_f32 v[142:143], v[128:129], v[82:83], v[132:133] op_sel:[0,0,1] op_sel_hi:[1,0,0]
	s_waitcnt vmcnt(3)
	v_pk_mul_f32 v[128:129], v[130:131], v[80:81] op_sel:[0,1]
	v_mov_b32_e32 v95, v91
	v_pk_fma_f32 v[144:145], v[130:131], v[80:81], v[128:129] op_sel:[0,0,1] op_sel_hi:[1,1,0] neg_lo:[0,0,1] neg_hi:[0,0,1]
	v_pk_fma_f32 v[146:147], v[130:131], v[80:81], v[128:129] op_sel:[0,0,1] op_sel_hi:[1,0,0]
	s_waitcnt vmcnt(2) lgkmcnt(0)
	v_pk_mul_f32 v[128:129], v[100:101], v[98:99] op_sel:[0,1]
	ds_read_b64 v[90:91], v104 offset:1664
	v_pk_fma_f32 v[148:149], v[100:101], v[98:99], v[128:129] op_sel:[0,0,1] op_sel_hi:[1,1,0] neg_lo:[0,0,1] neg_hi:[0,0,1]
	v_pk_fma_f32 v[150:151], v[100:101], v[98:99], v[128:129] op_sel:[0,0,1] op_sel_hi:[1,0,0]
	ds_read_b64 v[128:129], v5
	s_waitcnt vmcnt(1)
	v_pk_mul_f32 v[100:101], v[102:103], v[96:97] op_sel:[0,1]
	v_mov_b32_e32 v137, v139
	v_pk_fma_f32 v[152:153], v[102:103], v[96:97], v[100:101] op_sel:[0,0,1] op_sel_hi:[1,1,0] neg_lo:[0,0,1] neg_hi:[0,0,1]
	v_pk_fma_f32 v[154:155], v[102:103], v[96:97], v[100:101] op_sel:[0,0,1] op_sel_hi:[1,0,0]
	s_waitcnt lgkmcnt(0)
	v_pk_add_f32 v[94:95], v[128:129], v[94:95] neg_lo:[0,1] neg_hi:[0,1]
	v_cndmask_b32_e32 v3, 0, v3, vcc
	v_pk_fma_f32 v[156:157], v[128:129], 2.0, v[94:95] op_sel_hi:[1,0,1] neg_lo:[0,0,1] neg_hi:[0,0,1]
	ds_read2_b64 v[100:103], v104 offset0:16 offset1:32
	ds_read2_b64 v[128:131], v104 offset0:48 offset1:64
	;; [unrolled: 1-line block ×3, first 2 shown]
	v_mov_b32_e32 v153, v155
	s_waitcnt lgkmcnt(0)
	; wave barrier
	s_waitcnt lgkmcnt(0)
	ds_write2_b64 v5, v[156:157], v[94:95] offset1:56
	v_mov_b32_e32 v149, v151
	v_pk_add_f32 v[94:95], v[100:101], v[136:137] neg_lo:[0,1] neg_hi:[0,1]
	v_add_u32_e32 v3, v3, v86
	v_pk_add_f32 v[78:79], v[128:129], v[152:153] neg_lo:[0,1] neg_hi:[0,1]
	v_pk_add_f32 v[136:137], v[102:103], v[148:149] neg_lo:[0,1] neg_hi:[0,1]
	v_pk_fma_f32 v[100:101], v[100:101], 2.0, v[94:95] op_sel_hi:[1,0,1] neg_lo:[0,0,1] neg_hi:[0,0,1]
	v_add_lshl_u32 v3, v84, v3, 3
	v_pk_fma_f32 v[84:85], v[128:129], 2.0, v[78:79] op_sel_hi:[1,0,1] neg_lo:[0,0,1] neg_hi:[0,0,1]
	v_mov_b32_e32 v141, v143
	v_mov_b32_e32 v145, v147
	v_pk_fma_f32 v[102:103], v[102:103], 2.0, v[136:137] op_sel_hi:[1,0,1] neg_lo:[0,0,1] neg_hi:[0,0,1]
	ds_write_b64 v104, v[100:101] offset:128
	ds_write_b64 v5, v[94:95] offset:576
	;; [unrolled: 1-line block ×4, first 2 shown]
	ds_write2_b64 v3, v[84:85], v[78:79] offset1:56
	v_pk_add_f32 v[78:79], v[130:131], v[140:141] neg_lo:[0,1] neg_hi:[0,1]
	v_pk_add_f32 v[86:87], v[132:133], v[144:145] neg_lo:[0,1] neg_hi:[0,1]
	v_pk_fma_f32 v[84:85], v[130:131], 2.0, v[78:79] op_sel_hi:[1,0,1] neg_lo:[0,0,1] neg_hi:[0,0,1]
	v_pk_fma_f32 v[94:95], v[132:133], 2.0, v[86:87] op_sel_hi:[1,0,1] neg_lo:[0,0,1] neg_hi:[0,0,1]
	ds_write2_b64 v5, v[84:85], v[94:95] offset0:120 offset1:136
	s_waitcnt vmcnt(0)
	v_pk_mul_f32 v[84:85], v[90:91], v[92:93] op_sel:[0,1]
	s_nop 0
	v_pk_fma_f32 v[94:95], v[90:91], v[92:93], v[84:85] op_sel:[0,0,1] op_sel_hi:[1,1,0] neg_lo:[0,0,1] neg_hi:[0,0,1]
	v_pk_fma_f32 v[84:85], v[90:91], v[92:93], v[84:85] op_sel:[0,0,1] op_sel_hi:[1,0,0]
	s_nop 0
	v_mov_b32_e32 v95, v85
	v_pk_add_f32 v[84:85], v[134:135], v[94:95] neg_lo:[0,1] neg_hi:[0,1]
	s_nop 0
	v_pk_fma_f32 v[90:91], v[134:135], 2.0, v[84:85] op_sel_hi:[1,0,1] neg_lo:[0,0,1] neg_hi:[0,0,1]
	ds_write2_b64 v5, v[90:91], v[78:79] offset0:152 offset1:176
	ds_write2_b64 v5, v[86:87], v[84:85] offset0:192 offset1:208
	s_waitcnt lgkmcnt(0)
	; wave barrier
	s_waitcnt lgkmcnt(0)
	global_load_dwordx2 v[100:101], v105, s[10:11] offset:840
	global_load_dwordx2 v[86:87], v105, s[10:11] offset:968
	;; [unrolled: 1-line block ×6, first 2 shown]
	ds_read2_b64 v[128:131], v104 offset0:112 offset1:128
	ds_read2_b64 v[132:135], v104 offset0:144 offset1:160
	ds_read_b64 v[156:157], v104 offset:1664
	s_waitcnt vmcnt(5) lgkmcnt(2)
	v_pk_mul_f32 v[102:103], v[128:129], v[100:101] op_sel:[0,1]
	s_nop 0
	v_pk_fma_f32 v[136:137], v[128:129], v[100:101], v[102:103] op_sel:[0,0,1] op_sel_hi:[1,1,0] neg_lo:[0,0,1] neg_hi:[0,0,1]
	v_pk_fma_f32 v[102:103], v[128:129], v[100:101], v[102:103] op_sel:[0,0,1] op_sel_hi:[1,0,0]
	s_waitcnt vmcnt(4)
	v_pk_mul_f32 v[128:129], v[130:131], v[86:87] op_sel:[0,1]
	s_waitcnt vmcnt(3) lgkmcnt(1)
	v_pk_mul_f32 v[142:143], v[132:133], v[84:85] op_sel:[0,1]
	v_pk_fma_f32 v[140:141], v[130:131], v[86:87], v[128:129] op_sel:[0,0,1] op_sel_hi:[1,1,0] neg_lo:[0,0,1] neg_hi:[0,0,1]
	v_pk_fma_f32 v[138:139], v[130:131], v[86:87], v[128:129] op_sel:[0,0,1] op_sel_hi:[1,0,0]
	ds_read2_b64 v[128:131], v104 offset0:176 offset1:192
	v_pk_fma_f32 v[144:145], v[132:133], v[84:85], v[142:143] op_sel:[0,0,1] op_sel_hi:[1,1,0] neg_lo:[0,0,1] neg_hi:[0,0,1]
	v_pk_fma_f32 v[132:133], v[132:133], v[84:85], v[142:143] op_sel:[0,0,1] op_sel_hi:[1,0,0]
	s_waitcnt vmcnt(2)
	v_pk_mul_f32 v[142:143], v[134:135], v[78:79] op_sel:[0,1]
	v_mov_b32_e32 v137, v103
	v_pk_fma_f32 v[146:147], v[134:135], v[78:79], v[142:143] op_sel:[0,0,1] op_sel_hi:[1,1,0] neg_lo:[0,0,1] neg_hi:[0,0,1]
	v_pk_fma_f32 v[142:143], v[134:135], v[78:79], v[142:143] op_sel:[0,0,1] op_sel_hi:[1,0,0]
	s_waitcnt vmcnt(1) lgkmcnt(0)
	v_pk_mul_f32 v[134:135], v[128:129], v[94:95] op_sel:[0,1]
	v_mov_b32_e32 v141, v139
	v_pk_fma_f32 v[148:149], v[128:129], v[94:95], v[134:135] op_sel:[0,0,1] op_sel_hi:[1,1,0] neg_lo:[0,0,1] neg_hi:[0,0,1]
	v_pk_fma_f32 v[150:151], v[128:129], v[94:95], v[134:135] op_sel:[0,0,1] op_sel_hi:[1,0,0]
	s_waitcnt vmcnt(0)
	v_pk_mul_f32 v[128:129], v[130:131], v[90:91] op_sel:[0,1]
	ds_read_b64 v[134:135], v5
	v_pk_fma_f32 v[152:153], v[130:131], v[90:91], v[128:129] op_sel:[0,0,1] op_sel_hi:[1,1,0] neg_lo:[0,0,1] neg_hi:[0,0,1]
	v_pk_fma_f32 v[154:155], v[130:131], v[90:91], v[128:129] op_sel:[0,0,1] op_sel_hi:[1,0,0]
	ds_read2_b64 v[128:131], v104 offset0:16 offset1:32
	v_mov_b32_e32 v145, v133
	s_waitcnt lgkmcnt(1)
	v_pk_add_f32 v[102:103], v[134:135], v[136:137] neg_lo:[0,1] neg_hi:[0,1]
	v_mov_b32_e32 v147, v143
	v_pk_fma_f32 v[158:159], v[134:135], 2.0, v[102:103] op_sel_hi:[1,0,1] neg_lo:[0,0,1] neg_hi:[0,0,1]
	s_waitcnt lgkmcnt(0)
	v_pk_add_f32 v[140:141], v[128:129], v[140:141] neg_lo:[0,1] neg_hi:[0,1]
	ds_read2_b64 v[132:135], v104 offset0:48 offset1:64
	ds_read2_b64 v[136:139], v104 offset0:80 offset1:96
	ds_write_b64 v5, v[158:159]
	ds_write2_b64 v104, v[102:103], v[140:141] offset0:112 offset1:128
	v_pk_fma_f32 v[102:103], v[128:129], 2.0, v[140:141] op_sel_hi:[1,0,1] neg_lo:[0,0,1] neg_hi:[0,0,1]
	v_pk_add_f32 v[128:129], v[130:131], v[144:145] neg_lo:[0,1] neg_hi:[0,1]
	v_mov_b32_e32 v149, v151
	v_pk_fma_f32 v[130:131], v[130:131], 2.0, v[128:129] op_sel_hi:[1,0,1] neg_lo:[0,0,1] neg_hi:[0,0,1]
	ds_write2_b64 v104, v[102:103], v[130:131] offset0:16 offset1:32
	global_load_dwordx2 v[102:103], v105, s[10:11] offset:1608
	s_waitcnt lgkmcnt(4)
	v_pk_add_f32 v[130:131], v[132:133], v[146:147] neg_lo:[0,1] neg_hi:[0,1]
	ds_write2_b64 v104, v[128:129], v[130:131] offset0:144 offset1:160
	v_pk_fma_f32 v[128:129], v[132:133], 2.0, v[130:131] op_sel_hi:[1,0,1] neg_lo:[0,0,1] neg_hi:[0,0,1]
	v_pk_add_f32 v[130:131], v[134:135], v[148:149] neg_lo:[0,1] neg_hi:[0,1]
	v_mov_b32_e32 v153, v155
	v_pk_fma_f32 v[132:133], v[134:135], 2.0, v[130:131] op_sel_hi:[1,0,1] neg_lo:[0,0,1] neg_hi:[0,0,1]
	ds_write2_b64 v104, v[128:129], v[132:133] offset0:48 offset1:64
	s_mov_b32 s10, 0xbf5ff5aa
	s_waitcnt vmcnt(0)
	v_pk_mul_f32 v[128:129], v[156:157], v[102:103] op_sel:[0,1]
	s_nop 0
	v_pk_fma_f32 v[132:133], v[156:157], v[102:103], v[128:129] op_sel:[0,0,1] op_sel_hi:[1,1,0] neg_lo:[0,0,1] neg_hi:[0,0,1]
	v_pk_fma_f32 v[128:129], v[156:157], v[102:103], v[128:129] op_sel:[0,0,1] op_sel_hi:[1,0,0]
	s_nop 0
	v_mov_b32_e32 v133, v129
	s_waitcnt lgkmcnt(5)
	v_pk_add_f32 v[128:129], v[136:137], v[152:153] neg_lo:[0,1] neg_hi:[0,1]
	ds_write2_b64 v104, v[130:131], v[128:129] offset0:176 offset1:192
	v_pk_add_f32 v[130:131], v[138:139], v[132:133] neg_lo:[0,1] neg_hi:[0,1]
	v_pk_fma_f32 v[128:129], v[136:137], 2.0, v[128:129] op_sel_hi:[1,0,1] neg_lo:[0,0,1] neg_hi:[0,0,1]
	v_pk_fma_f32 v[132:133], v[138:139], 2.0, v[130:131] op_sel_hi:[1,0,1] neg_lo:[0,0,1] neg_hi:[0,0,1]
	ds_write2_b64 v104, v[128:129], v[132:133] offset0:80 offset1:96
	ds_write_b64 v104, v[130:131] offset:1664
	s_waitcnt lgkmcnt(0)
	; wave barrier
	s_waitcnt lgkmcnt(0)
	global_load_dwordx2 v[128:129], v105, s[8:9] offset:1792
	global_load_dwordx2 v[132:133], v105, s[2:3] offset:256
	;; [unrolled: 1-line block ×11, first 2 shown]
	ds_read_b64 v[130:131], v5
	s_mov_b32 s8, 0xbeae86e6
	s_mov_b32 s9, 0x3f08b237
	;; [unrolled: 1-line block ×4, first 2 shown]
	s_waitcnt vmcnt(10) lgkmcnt(0)
	v_mul_f32_e32 v127, v131, v129
	v_mul_f32_e32 v153, v130, v129
	v_fma_f32 v152, v130, v128, -v127
	v_fmac_f32_e32 v153, v131, v128
	ds_write_b64 v5, v[152:153]
	ds_read2_b64 v[128:131], v104 offset0:16 offset1:32
	s_waitcnt vmcnt(9) lgkmcnt(0)
	v_mul_f32_e32 v127, v131, v133
	v_fma_f32 v152, v130, v132, -v127
	v_mul_f32_e32 v153, v130, v133
	s_waitcnt vmcnt(8)
	v_mul_f32_e32 v127, v129, v135
	v_mul_f32_e32 v133, v128, v135
	v_fmac_f32_e32 v153, v131, v132
	v_fma_f32 v132, v128, v134, -v127
	v_fmac_f32_e32 v133, v129, v134
	ds_read2_b64 v[128:131], v104 offset0:48 offset1:64
	s_waitcnt vmcnt(7) lgkmcnt(0)
	v_mul_f32_e32 v127, v131, v137
	v_fma_f32 v134, v130, v136, -v127
	v_mul_f32_e32 v135, v130, v137
	s_waitcnt vmcnt(6)
	v_mul_f32_e32 v127, v129, v139
	v_mul_f32_e32 v137, v128, v139
	v_fmac_f32_e32 v135, v131, v136
	v_fma_f32 v136, v128, v138, -v127
	v_fmac_f32_e32 v137, v129, v138
	;; [unrolled: 11-line block ×5, first 2 shown]
	global_load_dwordx2 v[150:151], v105, s[2:3] offset:1536
	ds_read2_b64 v[128:131], v104 offset0:176 offset1:192
	s_waitcnt vmcnt(0) lgkmcnt(0)
	v_mul_f32_e32 v127, v131, v151
	v_mul_f32_e32 v155, v130, v151
	v_fma_f32 v154, v130, v150, -v127
	v_fmac_f32_e32 v155, v131, v150
	global_load_dwordx2 v[130:131], v105, s[2:3] offset:1408
	s_waitcnt vmcnt(0)
	v_mul_f32_e32 v127, v129, v131
	v_mul_f32_e32 v151, v128, v131
	v_fma_f32 v150, v128, v130, -v127
	v_fmac_f32_e32 v151, v129, v130
	global_load_dwordx2 v[128:129], v105, s[2:3] offset:1664
	ds_write2_b64 v104, v[132:133], v[152:153] offset0:16 offset1:32
	ds_write2_b64 v104, v[136:137], v[134:135] offset0:48 offset1:64
	ds_read_b64 v[130:131], v104 offset:1664
	ds_write2_b64 v104, v[140:141], v[138:139] offset0:80 offset1:96
	ds_write2_b64 v104, v[144:145], v[142:143] offset0:112 offset1:128
	;; [unrolled: 1-line block ×4, first 2 shown]
	s_mov_b32 s2, 0xbee1c552
	s_waitcnt vmcnt(0) lgkmcnt(4)
	v_mul_f32_e32 v105, v131, v129
	v_mul_f32_e32 v133, v130, v129
	v_fma_f32 v132, v130, v128, -v105
	v_fmac_f32_e32 v133, v131, v128
	ds_write_b64 v104, v[132:133] offset:1664
	s_waitcnt lgkmcnt(0)
	; wave barrier
	s_waitcnt lgkmcnt(0)
	ds_read2_b64 v[128:131], v104 offset0:16 offset1:32
	ds_read2_b64 v[132:135], v104 offset0:176 offset1:192
	;; [unrolled: 1-line block ×5, first 2 shown]
	s_waitcnt lgkmcnt(3)
	v_pk_add_f32 v[148:149], v[130:131], v[134:135]
	v_pk_add_f32 v[134:135], v[130:131], v[134:135] neg_lo:[0,1] neg_hi:[0,1]
	s_waitcnt lgkmcnt(2)
	v_pk_add_f32 v[150:151], v[136:137], v[132:133]
	v_pk_add_f32 v[136:137], v[136:137], v[132:133] neg_lo:[0,1] neg_hi:[0,1]
	ds_read2_b64 v[130:133], v104 offset0:48 offset1:64
	s_waitcnt lgkmcnt(2)
	v_pk_add_f32 v[152:153], v[138:139], v[142:143]
	v_pk_add_f32 v[138:139], v[142:143], v[138:139] neg_lo:[0,1] neg_hi:[0,1]
	s_waitcnt lgkmcnt(1)
	v_pk_add_f32 v[142:143], v[140:141], v[144:145]
	v_pk_add_f32 v[140:141], v[144:145], v[140:141] neg_lo:[0,1] neg_hi:[0,1]
	;; [unrolled: 3-line block ×3, first 2 shown]
	v_mov_b32_e32 v146, v152
	v_mov_b32_e32 v147, v149
	;; [unrolled: 1-line block ×4, first 2 shown]
	v_pk_add_f32 v[146:147], v[146:147], v[154:155] neg_lo:[0,1] neg_hi:[0,1]
	v_pk_add_f32 v[154:155], v[144:145], v[148:149]
	v_mov_b32_e32 v156, v148
	v_pk_add_f32 v[154:155], v[152:153], v[154:155]
	v_mov_b32_e32 v157, v153
	v_mov_b32_e32 v153, v145
	v_pk_add_f32 v[152:153], v[156:157], v[152:153] neg_lo:[0,1] neg_hi:[0,1]
	v_mov_b32_e32 v156, v139
	v_mov_b32_e32 v157, v134
	;; [unrolled: 1-line block ×4, first 2 shown]
	v_pk_add_f32 v[156:157], v[156:157], v[158:159] neg_lo:[0,1] neg_hi:[0,1]
	v_mov_b32_e32 v158, v135
	v_mov_b32_e32 v160, v139
	;; [unrolled: 1-line block ×3, first 2 shown]
	v_pk_add_f32 v[138:139], v[138:139], v[132:133]
	v_pk_add_f32 v[158:159], v[158:159], v[160:161] neg_lo:[0,1] neg_hi:[0,1]
	v_pk_add_f32 v[138:139], v[138:139], v[134:135]
	v_pk_mul_f32 v[156:157], v[156:157], s[18:19]
	v_pk_mul_f32 v[160:161], v[138:139], s[2:3] op_sel_hi:[1,0]
	v_pk_fma_f32 v[162:163], v[158:159], s[8:9], v[156:157]
	v_pk_mul_f32 v[146:147], v[146:147], s[14:15]
	v_pk_add_f32 v[160:161], v[160:161], v[162:163] op_sel:[1,0] op_sel_hi:[0,1]
	ds_read_b64 v[162:163], v5
	v_pk_fma_f32 v[164:165], v[152:153], s[6:7], v[146:147]
	v_pk_add_f32 v[132:133], v[132:133], v[134:135] neg_lo:[0,1] neg_hi:[0,1]
	v_pk_mul_f32 v[134:135], v[152:153], s[6:7]
	v_pk_add_f32 v[144:145], v[144:145], v[148:149] neg_lo:[0,1] neg_hi:[0,1]
	s_waitcnt lgkmcnt(0)
	v_pk_add_f32 v[162:163], v[162:163], v[154:155]
	v_pk_mul_f32 v[148:149], v[158:159], s[8:9]
	v_pk_fma_f32 v[154:155], v[154:155], s[12:13], v[162:163] op_sel_hi:[1,0,1] neg_lo:[1,0,0] neg_hi:[1,0,0]
	v_mov_b32_e32 v152, v134
	v_pk_add_f32 v[164:165], v[164:165], v[154:155]
	v_mov_b32_e32 v153, v147
	v_mov_b32_e32 v147, v135
	v_pk_add_f32 v[166:167], v[164:165], v[160:161]
	v_pk_add_f32 v[160:161], v[164:165], v[160:161] neg_lo:[0,1] neg_hi:[0,1]
	ds_read_b64 v[164:165], v104 offset:1664
	v_pk_fma_f32 v[152:153], v[144:145], s[16:17], v[152:153] op_sel_hi:[1,0,1] neg_lo:[1,0,1] neg_hi:[1,0,1]
	v_mov_b32_e32 v158, v157
	v_mov_b32_e32 v159, v148
	v_pk_fma_f32 v[134:135], v[144:145], s[16:17], v[146:147] op_sel_hi:[1,0,1] neg_lo:[0,0,1] neg_hi:[0,0,1]
	v_mov_b32_e32 v144, v149
	v_mov_b32_e32 v145, v156
	v_pk_fma_f32 v[158:159], v[132:133], s[10:11], v[158:159] op_sel_hi:[1,0,1] neg_lo:[1,0,1] neg_hi:[1,0,1]
	v_pk_fma_f32 v[132:133], v[132:133], s[10:11], v[144:145] op_sel_hi:[1,0,1] neg_lo:[0,0,1] neg_hi:[0,0,1]
	v_mov_b32_e32 v168, v166
	v_mov_b32_e32 v169, v161
	v_pk_add_f32 v[152:153], v[152:153], v[154:155]
	v_pk_fma_f32 v[158:159], v[138:139], s[2:3], v[158:159] op_sel_hi:[1,0,1]
	v_pk_add_f32 v[134:135], v[134:135], v[154:155]
	v_pk_fma_f32 v[132:133], v[138:139], s[2:3], v[132:133] op_sel_hi:[1,0,1]
	s_waitcnt lgkmcnt(0)
	; wave barrier
	s_waitcnt lgkmcnt(0)
	ds_write2_b64 v107, v[162:163], v[168:169] offset1:1
	v_pk_add_f32 v[162:163], v[152:153], v[158:159] op_sel:[0,1] op_sel_hi:[1,0]
	v_pk_add_f32 v[152:153], v[152:153], v[158:159] op_sel:[0,1] op_sel_hi:[1,0] neg_lo:[0,1] neg_hi:[0,1]
	v_pk_add_f32 v[138:139], v[134:135], v[132:133] op_sel:[0,1] op_sel_hi:[1,0] neg_lo:[0,1] neg_hi:[0,1]
	v_pk_add_f32 v[132:133], v[134:135], v[132:133] op_sel:[0,1] op_sel_hi:[1,0]
	v_mov_b32_e32 v135, v153
	v_mov_b32_e32 v145, v133
	;; [unrolled: 1-line block ×6, first 2 shown]
	ds_write2_b64 v107, v[132:133], v[152:153] offset0:4 offset1:5
	v_pk_add_f32 v[132:133], v[130:131], v[164:165]
	ds_write2_b64 v107, v[134:135], v[144:145] offset0:2 offset1:3
	v_pk_add_f32 v[134:135], v[150:151], v[132:133]
	v_mov_b32_e32 v138, v142
	v_mov_b32_e32 v139, v133
	;; [unrolled: 1-line block ×4, first 2 shown]
	v_pk_add_f32 v[130:131], v[130:131], v[164:165] neg_lo:[0,1] neg_hi:[0,1]
	v_pk_add_f32 v[134:135], v[142:143], v[134:135]
	v_pk_add_f32 v[138:139], v[138:139], v[144:145] neg_lo:[0,1] neg_hi:[0,1]
	v_mov_b32_e32 v144, v132
	v_mov_b32_e32 v143, v151
	v_pk_add_f32 v[142:143], v[144:145], v[142:143] neg_lo:[0,1] neg_hi:[0,1]
	v_mov_b32_e32 v144, v141
	v_mov_b32_e32 v145, v130
	;; [unrolled: 1-line block ×4, first 2 shown]
	v_pk_add_f32 v[144:145], v[144:145], v[146:147] neg_lo:[0,1] neg_hi:[0,1]
	v_mov_b32_e32 v146, v131
	v_mov_b32_e32 v148, v141
	;; [unrolled: 1-line block ×3, first 2 shown]
	v_pk_add_f32 v[140:141], v[140:141], v[136:137]
	v_pk_add_f32 v[146:147], v[146:147], v[148:149] neg_lo:[0,1] neg_hi:[0,1]
	v_pk_add_f32 v[140:141], v[140:141], v[130:131]
	v_pk_mul_f32 v[144:145], v[144:145], s[18:19]
	v_pk_add_f32 v[128:129], v[128:129], v[134:135]
	v_pk_mul_f32 v[148:149], v[140:141], s[2:3] op_sel_hi:[1,0]
	v_pk_fma_f32 v[152:153], v[146:147], s[8:9], v[144:145]
	v_pk_mul_f32 v[138:139], v[138:139], s[14:15]
	v_pk_add_f32 v[148:149], v[148:149], v[152:153] op_sel:[1,0] op_sel_hi:[0,1]
	v_pk_fma_f32 v[134:135], v[134:135], s[12:13], v[128:129] op_sel_hi:[1,0,1] neg_lo:[1,0,0] neg_hi:[1,0,0]
	v_pk_fma_f32 v[152:153], v[142:143], s[6:7], v[138:139]
	v_mov_b32_e32 v161, v167
	v_pk_add_f32 v[152:153], v[152:153], v[134:135]
	ds_write_b64 v107, v[160:161] offset:48
	v_pk_add_f32 v[154:155], v[152:153], v[148:149]
	v_pk_add_f32 v[148:149], v[152:153], v[148:149] neg_lo:[0,1] neg_hi:[0,1]
	v_mov_b32_e32 v152, v154
	v_mov_b32_e32 v153, v149
	ds_write2_b64 v106, v[128:129], v[152:153] offset1:1
	v_pk_add_f32 v[128:129], v[150:151], v[132:133] neg_lo:[0,1] neg_hi:[0,1]
	v_pk_add_f32 v[130:131], v[136:137], v[130:131] neg_lo:[0,1] neg_hi:[0,1]
	v_pk_mul_f32 v[132:133], v[142:143], s[6:7]
	v_pk_mul_f32 v[136:137], v[146:147], s[8:9]
	v_mov_b32_e32 v142, v132
	v_mov_b32_e32 v143, v139
	;; [unrolled: 1-line block ×7, first 2 shown]
	v_pk_fma_f32 v[142:143], v[128:129], s[16:17], v[142:143] op_sel_hi:[1,0,1] neg_lo:[1,0,1] neg_hi:[1,0,1]
	v_pk_fma_f32 v[146:147], v[130:131], s[10:11], v[146:147] op_sel_hi:[1,0,1] neg_lo:[1,0,1] neg_hi:[1,0,1]
	;; [unrolled: 1-line block ×4, first 2 shown]
	v_pk_add_f32 v[142:143], v[142:143], v[134:135]
	v_pk_fma_f32 v[146:147], v[140:141], s[2:3], v[146:147] op_sel_hi:[1,0,1]
	v_pk_add_f32 v[128:129], v[128:129], v[134:135]
	v_pk_fma_f32 v[130:131], v[140:141], s[2:3], v[130:131] op_sel_hi:[1,0,1]
	v_pk_add_f32 v[150:151], v[142:143], v[146:147] op_sel:[0,1] op_sel_hi:[1,0]
	v_pk_add_f32 v[142:143], v[142:143], v[146:147] op_sel:[0,1] op_sel_hi:[1,0] neg_lo:[0,1] neg_hi:[0,1]
	v_pk_add_f32 v[132:133], v[128:129], v[130:131] op_sel:[0,1] op_sel_hi:[1,0] neg_lo:[0,1] neg_hi:[0,1]
	v_pk_add_f32 v[128:129], v[128:129], v[130:131] op_sel:[0,1] op_sel_hi:[1,0]
	v_mov_b32_e32 v130, v150
	v_mov_b32_e32 v131, v143
	;; [unrolled: 1-line block ×7, first 2 shown]
	ds_write2_b64 v106, v[130:131], v[134:135] offset0:2 offset1:3
	ds_write2_b64 v106, v[128:129], v[142:143] offset0:4 offset1:5
	ds_write_b64 v106, v[148:149] offset:48
	s_waitcnt lgkmcnt(0)
	; wave barrier
	s_waitcnt lgkmcnt(0)
	ds_read2_b64 v[128:131], v104 offset0:176 offset1:192
	ds_read2_b64 v[132:135], v104 offset0:144 offset1:160
	ds_read_b64 v[148:149], v5
	s_waitcnt lgkmcnt(2)
	v_pk_mul_f32 v[106:107], v[40:41], v[130:131] op_sel:[1,0]
	s_nop 0
	v_pk_fma_f32 v[136:137], v[40:41], v[130:131], v[106:107] op_sel:[0,0,1] op_sel_hi:[1,1,0]
	v_pk_fma_f32 v[106:107], v[40:41], v[130:131], v[106:107] op_sel:[0,0,1] op_sel_hi:[0,1,0] neg_lo:[0,0,1] neg_hi:[0,0,1]
	v_pk_mul_f32 v[40:41], v[44:45], v[128:129] op_sel:[1,0]
	v_mov_b32_e32 v137, v107
	v_pk_fma_f32 v[138:139], v[44:45], v[128:129], v[40:41] op_sel:[0,0,1] op_sel_hi:[1,1,0]
	v_pk_fma_f32 v[140:141], v[44:45], v[128:129], v[40:41] op_sel:[0,0,1] op_sel_hi:[0,1,0] neg_lo:[0,0,1] neg_hi:[0,0,1]
	ds_read2_b64 v[128:131], v104 offset0:112 offset1:128
	s_waitcnt lgkmcnt(2)
	v_pk_mul_f32 v[40:41], v[38:39], v[134:135] op_sel:[1,0]
	v_mov_b32_e32 v139, v141
	v_pk_fma_f32 v[142:143], v[38:39], v[134:135], v[40:41] op_sel:[0,0,1] op_sel_hi:[1,1,0]
	v_pk_fma_f32 v[134:135], v[38:39], v[134:135], v[40:41] op_sel:[0,0,1] op_sel_hi:[0,1,0] neg_lo:[0,0,1] neg_hi:[0,0,1]
	v_pk_mul_f32 v[38:39], v[36:37], v[132:133] op_sel:[1,0]
	v_mov_b32_e32 v143, v135
	v_pk_fma_f32 v[144:145], v[36:37], v[132:133], v[38:39] op_sel:[0,0,1] op_sel_hi:[1,1,0]
	v_pk_fma_f32 v[132:133], v[36:37], v[132:133], v[38:39] op_sel:[0,0,1] op_sel_hi:[0,1,0] neg_lo:[0,0,1] neg_hi:[0,0,1]
	s_waitcnt lgkmcnt(0)
	v_pk_mul_f32 v[36:37], v[42:43], v[130:131] op_sel:[1,0]
	v_mov_b32_e32 v145, v133
	v_pk_fma_f32 v[146:147], v[42:43], v[130:131], v[36:37] op_sel:[0,0,1] op_sel_hi:[1,1,0]
	v_pk_fma_f32 v[130:131], v[42:43], v[130:131], v[36:37] op_sel:[0,0,1] op_sel_hi:[0,1,0] neg_lo:[0,0,1] neg_hi:[0,0,1]
	v_pk_mul_f32 v[36:37], v[34:35], v[128:129] op_sel:[1,0]
	v_mov_b32_e32 v147, v131
	v_pk_fma_f32 v[38:39], v[34:35], v[128:129], v[36:37] op_sel:[0,0,1] op_sel_hi:[1,1,0]
	v_pk_fma_f32 v[34:35], v[34:35], v[128:129], v[36:37] op_sel:[0,0,1] op_sel_hi:[0,1,0] neg_lo:[0,0,1] neg_hi:[0,0,1]
	v_mov_b32_e32 v39, v35
	v_pk_add_f32 v[128:129], v[148:149], v[38:39] neg_lo:[0,1] neg_hi:[0,1]
	ds_read_b64 v[150:151], v104 offset:1664
	ds_read2_b64 v[34:37], v104 offset0:80 offset1:96
	ds_read2_b64 v[38:41], v104 offset0:48 offset1:64
	;; [unrolled: 1-line block ×3, first 2 shown]
	v_pk_fma_f32 v[148:149], v[148:149], 2.0, v[128:129] op_sel_hi:[1,0,1] neg_lo:[0,0,1] neg_hi:[0,0,1]
	s_waitcnt lgkmcnt(0)
	; wave barrier
	s_waitcnt lgkmcnt(0)
	ds_write2_b64 v108, v[148:149], v[128:129] offset1:7
	v_pk_add_f32 v[128:129], v[42:43], v[146:147] neg_lo:[0,1] neg_hi:[0,1]
	s_nop 0
	v_pk_fma_f32 v[42:43], v[42:43], 2.0, v[128:129] op_sel_hi:[1,0,1] neg_lo:[0,0,1] neg_hi:[0,0,1]
	ds_write2_b64 v109, v[42:43], v[128:129] offset1:7
	v_pk_add_f32 v[42:43], v[44:45], v[144:145] neg_lo:[0,1] neg_hi:[0,1]
	s_nop 0
	v_pk_fma_f32 v[44:45], v[44:45], 2.0, v[42:43] op_sel_hi:[1,0,1] neg_lo:[0,0,1] neg_hi:[0,0,1]
	;; [unrolled: 4-line block ×5, first 2 shown]
	ds_write2_b64 v113, v[34:35], v[38:39] offset1:7
	v_pk_mul_f32 v[34:35], v[46:47], v[150:151] op_sel:[1,0]
	s_nop 0
	v_pk_fma_f32 v[38:39], v[46:47], v[150:151], v[34:35] op_sel:[0,0,1] op_sel_hi:[1,1,0]
	v_pk_fma_f32 v[34:35], v[46:47], v[150:151], v[34:35] op_sel:[0,0,1] op_sel_hi:[0,1,0] neg_lo:[0,0,1] neg_hi:[0,0,1]
	v_mov_b32_e32 v39, v35
	v_pk_add_f32 v[34:35], v[36:37], v[38:39] neg_lo:[0,1] neg_hi:[0,1]
	s_nop 0
	v_pk_fma_f32 v[36:37], v[36:37], 2.0, v[34:35] op_sel_hi:[1,0,1] neg_lo:[0,0,1] neg_hi:[0,0,1]
	ds_write2_b64 v114, v[36:37], v[34:35] offset1:7
	s_waitcnt lgkmcnt(0)
	; wave barrier
	s_waitcnt lgkmcnt(0)
	ds_read2_b64 v[34:37], v104 offset0:176 offset1:192
	ds_read2_b64 v[38:41], v104 offset0:144 offset1:160
	s_waitcnt lgkmcnt(1)
	v_pk_mul_f32 v[42:43], v[48:49], v[36:37] op_sel:[1,0]
	s_nop 0
	v_pk_fma_f32 v[46:47], v[48:49], v[36:37], v[42:43] op_sel:[0,0,1] op_sel_hi:[1,1,0]
	v_pk_fma_f32 v[48:49], v[48:49], v[36:37], v[42:43] op_sel:[0,0,1] op_sel_hi:[0,1,0] neg_lo:[0,0,1] neg_hi:[0,0,1]
	v_pk_mul_f32 v[36:37], v[60:61], v[34:35] op_sel:[1,0]
	s_waitcnt lgkmcnt(0)
	v_pk_mul_f32 v[42:43], v[54:55], v[40:41] op_sel:[1,0]
	v_pk_fma_f32 v[106:107], v[60:61], v[34:35], v[36:37] op_sel:[0,0,1] op_sel_hi:[1,1,0]
	v_pk_fma_f32 v[60:61], v[60:61], v[34:35], v[36:37] op_sel:[0,0,1] op_sel_hi:[0,1,0] neg_lo:[0,0,1] neg_hi:[0,0,1]
	ds_read2_b64 v[34:37], v104 offset0:112 offset1:128
	v_pk_fma_f32 v[108:109], v[54:55], v[40:41], v[42:43] op_sel:[0,0,1] op_sel_hi:[1,1,0]
	v_pk_fma_f32 v[54:55], v[54:55], v[40:41], v[42:43] op_sel:[0,0,1] op_sel_hi:[0,1,0] neg_lo:[0,0,1] neg_hi:[0,0,1]
	v_pk_mul_f32 v[40:41], v[52:53], v[38:39] op_sel:[1,0]
	v_mov_b32_e32 v109, v55
	v_pk_fma_f32 v[110:111], v[52:53], v[38:39], v[40:41] op_sel:[0,0,1] op_sel_hi:[1,1,0]
	v_pk_fma_f32 v[52:53], v[52:53], v[38:39], v[40:41] op_sel:[0,0,1] op_sel_hi:[0,1,0] neg_lo:[0,0,1] neg_hi:[0,0,1]
	s_waitcnt lgkmcnt(0)
	v_pk_mul_f32 v[38:39], v[56:57], v[36:37] op_sel:[1,0]
	v_mov_b32_e32 v111, v53
	v_pk_fma_f32 v[112:113], v[56:57], v[36:37], v[38:39] op_sel:[0,0,1] op_sel_hi:[1,1,0]
	v_pk_fma_f32 v[56:57], v[56:57], v[36:37], v[38:39] op_sel:[0,0,1] op_sel_hi:[0,1,0] neg_lo:[0,0,1] neg_hi:[0,0,1]
	ds_read_b64 v[36:37], v5
	v_pk_mul_f32 v[38:39], v[50:51], v[34:35] op_sel:[1,0]
	v_mov_b32_e32 v113, v57
	v_pk_fma_f32 v[40:41], v[50:51], v[34:35], v[38:39] op_sel:[0,0,1] op_sel_hi:[1,1,0]
	v_pk_fma_f32 v[34:35], v[50:51], v[34:35], v[38:39] op_sel:[0,0,1] op_sel_hi:[0,1,0] neg_lo:[0,0,1] neg_hi:[0,0,1]
	v_mov_b32_e32 v41, v35
	s_waitcnt lgkmcnt(0)
	v_pk_add_f32 v[50:51], v[36:37], v[40:41] neg_lo:[0,1] neg_hi:[0,1]
	v_mov_b32_e32 v107, v61
	v_pk_fma_f32 v[128:129], v[36:37], 2.0, v[50:51] op_sel_hi:[1,0,1] neg_lo:[0,0,1] neg_hi:[0,0,1]
	ds_read_b64 v[130:131], v104 offset:1664
	ds_read2_b64 v[34:37], v104 offset0:80 offset1:96
	ds_read2_b64 v[38:41], v104 offset0:48 offset1:64
	;; [unrolled: 1-line block ×3, first 2 shown]
	s_waitcnt lgkmcnt(0)
	; wave barrier
	s_waitcnt lgkmcnt(0)
	ds_write2_b64 v115, v[128:129], v[50:51] offset1:14
	v_mov_b32_e32 v47, v49
	v_pk_add_f32 v[50:51], v[42:43], v[112:113] neg_lo:[0,1] neg_hi:[0,1]
	s_nop 0
	v_pk_fma_f32 v[42:43], v[42:43], 2.0, v[50:51] op_sel_hi:[1,0,1] neg_lo:[0,0,1] neg_hi:[0,0,1]
	ds_write2_b64 v116, v[42:43], v[50:51] offset1:14
	v_pk_add_f32 v[42:43], v[44:45], v[110:111] neg_lo:[0,1] neg_hi:[0,1]
	s_nop 0
	v_pk_fma_f32 v[44:45], v[44:45], 2.0, v[42:43] op_sel_hi:[1,0,1] neg_lo:[0,0,1] neg_hi:[0,0,1]
	ds_write2_b64 v117, v[44:45], v[42:43] offset1:14
	;; [unrolled: 4-line block ×5, first 2 shown]
	v_pk_mul_f32 v[34:35], v[58:59], v[130:131] op_sel:[1,0]
	s_nop 0
	v_pk_fma_f32 v[38:39], v[58:59], v[130:131], v[34:35] op_sel:[0,0,1] op_sel_hi:[1,1,0]
	v_pk_fma_f32 v[34:35], v[58:59], v[130:131], v[34:35] op_sel:[0,0,1] op_sel_hi:[0,1,0] neg_lo:[0,0,1] neg_hi:[0,0,1]
	v_mov_b32_e32 v39, v35
	v_pk_add_f32 v[34:35], v[36:37], v[38:39] neg_lo:[0,1] neg_hi:[0,1]
	s_nop 0
	v_pk_fma_f32 v[36:37], v[36:37], 2.0, v[34:35] op_sel_hi:[1,0,1] neg_lo:[0,0,1] neg_hi:[0,0,1]
	ds_write2_b64 v121, v[36:37], v[34:35] offset1:14
	s_waitcnt lgkmcnt(0)
	; wave barrier
	s_waitcnt lgkmcnt(0)
	ds_read2_b64 v[34:37], v104 offset0:176 offset1:192
	ds_read2_b64 v[38:41], v104 offset0:144 offset1:160
	s_waitcnt lgkmcnt(1)
	v_pk_mul_f32 v[42:43], v[62:63], v[36:37] op_sel:[1,0]
	s_nop 0
	v_pk_fma_f32 v[46:47], v[62:63], v[36:37], v[42:43] op_sel:[0,0,1] op_sel_hi:[1,1,0]
	v_pk_fma_f32 v[48:49], v[62:63], v[36:37], v[42:43] op_sel:[0,0,1] op_sel_hi:[0,1,0] neg_lo:[0,0,1] neg_hi:[0,0,1]
	v_pk_mul_f32 v[36:37], v[66:67], v[34:35] op_sel:[1,0]
	s_waitcnt lgkmcnt(0)
	v_pk_mul_f32 v[42:43], v[68:69], v[38:39] op_sel:[1,0]
	v_pk_fma_f32 v[50:51], v[66:67], v[34:35], v[36:37] op_sel:[0,0,1] op_sel_hi:[1,1,0]
	v_pk_fma_f32 v[52:53], v[66:67], v[34:35], v[36:37] op_sel:[0,0,1] op_sel_hi:[0,1,0] neg_lo:[0,0,1] neg_hi:[0,0,1]
	ds_read2_b64 v[34:37], v104 offset0:112 offset1:128
	v_pk_fma_f32 v[54:55], v[68:69], v[38:39], v[42:43] op_sel:[0,0,1] op_sel_hi:[1,1,0]
	v_pk_fma_f32 v[56:57], v[68:69], v[38:39], v[42:43] op_sel:[0,0,1] op_sel_hi:[0,1,0] neg_lo:[0,0,1] neg_hi:[0,0,1]
	ds_read_b64 v[42:43], v5
	ds_read_b64 v[68:69], v104 offset:1664
	v_pk_mul_f32 v[38:39], v[70:71], v[40:41] op_sel:[1,0]
	v_mov_b32_e32 v55, v57
	v_pk_fma_f32 v[58:59], v[70:71], v[40:41], v[38:39] op_sel:[0,0,1] op_sel_hi:[1,1,0]
	v_pk_fma_f32 v[60:61], v[70:71], v[40:41], v[38:39] op_sel:[0,0,1] op_sel_hi:[0,1,0] neg_lo:[0,0,1] neg_hi:[0,0,1]
	s_waitcnt lgkmcnt(2)
	v_pk_mul_f32 v[38:39], v[74:75], v[34:35] op_sel:[1,0]
	v_mov_b32_e32 v59, v61
	v_pk_fma_f32 v[40:41], v[74:75], v[34:35], v[38:39] op_sel:[0,0,1] op_sel_hi:[1,1,0]
	v_pk_fma_f32 v[34:35], v[74:75], v[34:35], v[38:39] op_sel:[0,0,1] op_sel_hi:[0,1,0] neg_lo:[0,0,1] neg_hi:[0,0,1]
	v_mov_b32_e32 v41, v35
	v_pk_mul_f32 v[38:39], v[72:73], v[36:37] op_sel:[1,0]
	s_waitcnt lgkmcnt(1)
	v_pk_add_f32 v[70:71], v[42:43], v[40:41] neg_lo:[0,1] neg_hi:[0,1]
	v_pk_fma_f32 v[62:63], v[72:73], v[36:37], v[38:39] op_sel:[0,0,1] op_sel_hi:[1,1,0]
	v_pk_fma_f32 v[66:67], v[72:73], v[36:37], v[38:39] op_sel:[0,0,1] op_sel_hi:[0,1,0] neg_lo:[0,0,1] neg_hi:[0,0,1]
	v_pk_fma_f32 v[72:73], v[42:43], 2.0, v[70:71] op_sel_hi:[1,0,1] neg_lo:[0,0,1] neg_hi:[0,0,1]
	ds_read2_b64 v[34:37], v104 offset0:16 offset1:32
	ds_read2_b64 v[38:41], v104 offset0:80 offset1:96
	;; [unrolled: 1-line block ×3, first 2 shown]
	v_mov_b32_e32 v63, v67
	s_waitcnt lgkmcnt(0)
	v_pk_add_f32 v[62:63], v[34:35], v[62:63] neg_lo:[0,1] neg_hi:[0,1]
	; wave barrier
	s_nop 0
	v_pk_fma_f32 v[34:35], v[34:35], 2.0, v[62:63] op_sel_hi:[1,0,1] neg_lo:[0,0,1] neg_hi:[0,0,1]
	ds_write2_b64 v5, v[72:73], v[70:71] offset1:28
	ds_write2_b64 v122, v[34:35], v[62:63] offset1:28
	v_pk_add_f32 v[34:35], v[36:37], v[54:55] neg_lo:[0,1] neg_hi:[0,1]
	v_mov_b32_e32 v51, v53
	v_pk_fma_f32 v[36:37], v[36:37], 2.0, v[34:35] op_sel_hi:[1,0,1] neg_lo:[0,0,1] neg_hi:[0,0,1]
	ds_write2_b64 v5, v[36:37], v[34:35] offset0:60 offset1:88
	v_pk_add_f32 v[34:35], v[42:43], v[58:59] neg_lo:[0,1] neg_hi:[0,1]
	v_mov_b32_e32 v47, v49
	v_pk_fma_f32 v[36:37], v[42:43], 2.0, v[34:35] op_sel_hi:[1,0,1] neg_lo:[0,0,1] neg_hi:[0,0,1]
	ds_write2_b64 v123, v[36:37], v[34:35] offset1:28
	v_pk_add_f32 v[34:35], v[44:45], v[50:51] neg_lo:[0,1] neg_hi:[0,1]
	s_nop 0
	v_pk_fma_f32 v[36:37], v[44:45], 2.0, v[34:35] op_sel_hi:[1,0,1] neg_lo:[0,0,1] neg_hi:[0,0,1]
	ds_write2_b64 v124, v[36:37], v[34:35] offset0:112 offset1:140
	v_pk_add_f32 v[34:35], v[38:39], v[46:47] neg_lo:[0,1] neg_hi:[0,1]
	s_nop 0
	v_pk_fma_f32 v[36:37], v[38:39], 2.0, v[34:35] op_sel_hi:[1,0,1] neg_lo:[0,0,1] neg_hi:[0,0,1]
	ds_write2_b64 v125, v[36:37], v[34:35] offset1:28
	v_pk_mul_f32 v[34:35], v[64:65], v[68:69] op_sel:[1,0]
	s_nop 0
	v_pk_fma_f32 v[36:37], v[64:65], v[68:69], v[34:35] op_sel:[0,0,1] op_sel_hi:[1,1,0]
	v_pk_fma_f32 v[34:35], v[64:65], v[68:69], v[34:35] op_sel:[0,0,1] op_sel_hi:[0,1,0] neg_lo:[0,0,1] neg_hi:[0,0,1]
	v_mov_b32_e32 v37, v35
	v_pk_add_f32 v[34:35], v[40:41], v[36:37] neg_lo:[0,1] neg_hi:[0,1]
	s_nop 0
	v_pk_fma_f32 v[36:37], v[40:41], 2.0, v[34:35] op_sel_hi:[1,0,1] neg_lo:[0,0,1] neg_hi:[0,0,1]
	ds_write2_b64 v126, v[36:37], v[34:35] offset0:168 offset1:196
	s_waitcnt lgkmcnt(0)
	; wave barrier
	s_waitcnt lgkmcnt(0)
	ds_read2_b64 v[34:37], v104 offset0:112 offset1:128
	ds_read2_b64 v[38:41], v104 offset0:176 offset1:192
	s_waitcnt lgkmcnt(1)
	v_pk_mul_f32 v[42:43], v[76:77], v[34:35] op_sel:[1,0]
	s_nop 0
	v_pk_fma_f32 v[44:45], v[76:77], v[34:35], v[42:43] op_sel:[0,0,1] op_sel_hi:[1,1,0]
	v_pk_fma_f32 v[42:43], v[76:77], v[34:35], v[42:43] op_sel:[0,0,1] op_sel_hi:[0,1,0] neg_lo:[0,0,1] neg_hi:[0,0,1]
	v_pk_mul_f32 v[34:35], v[88:89], v[36:37] op_sel:[1,0]
	s_waitcnt lgkmcnt(0)
	v_pk_mul_f32 v[50:51], v[82:83], v[38:39] op_sel:[1,0]
	v_pk_fma_f32 v[46:47], v[88:89], v[36:37], v[34:35] op_sel:[0,0,1] op_sel_hi:[1,1,0]
	v_pk_fma_f32 v[48:49], v[88:89], v[36:37], v[34:35] op_sel:[0,0,1] op_sel_hi:[0,1,0] neg_lo:[0,0,1] neg_hi:[0,0,1]
	ds_read2_b64 v[34:37], v104 offset0:144 offset1:160
	v_pk_fma_f32 v[52:53], v[82:83], v[38:39], v[50:51] op_sel:[0,0,1] op_sel_hi:[1,1,0]
	v_pk_fma_f32 v[50:51], v[82:83], v[38:39], v[50:51] op_sel:[0,0,1] op_sel_hi:[0,1,0] neg_lo:[0,0,1] neg_hi:[0,0,1]
	v_pk_mul_f32 v[38:39], v[80:81], v[40:41] op_sel:[1,0]
	v_mov_b32_e32 v45, v43
	v_pk_fma_f32 v[54:55], v[80:81], v[40:41], v[38:39] op_sel:[0,0,1] op_sel_hi:[1,1,0]
	v_pk_fma_f32 v[56:57], v[80:81], v[40:41], v[38:39] op_sel:[0,0,1] op_sel_hi:[0,1,0] neg_lo:[0,0,1] neg_hi:[0,0,1]
	s_waitcnt lgkmcnt(0)
	v_pk_mul_f32 v[38:39], v[98:99], v[34:35] op_sel:[1,0]
	v_mov_b32_e32 v47, v49
	v_pk_fma_f32 v[58:59], v[98:99], v[34:35], v[38:39] op_sel:[0,0,1] op_sel_hi:[1,1,0]
	v_pk_fma_f32 v[60:61], v[98:99], v[34:35], v[38:39] op_sel:[0,0,1] op_sel_hi:[0,1,0] neg_lo:[0,0,1] neg_hi:[0,0,1]
	v_pk_mul_f32 v[38:39], v[96:97], v[36:37] op_sel:[1,0]
	ds_read_b64 v[34:35], v104 offset:1664
	v_pk_fma_f32 v[62:63], v[96:97], v[36:37], v[38:39] op_sel:[0,0,1] op_sel_hi:[1,1,0]
	v_pk_fma_f32 v[64:65], v[96:97], v[36:37], v[38:39] op_sel:[0,0,1] op_sel_hi:[0,1,0] neg_lo:[0,0,1] neg_hi:[0,0,1]
	ds_read_b64 v[36:37], v5
	v_mov_b32_e32 v59, v61
	s_waitcnt lgkmcnt(1)
	v_pk_mul_f32 v[38:39], v[92:93], v[34:35] op_sel:[1,0]
	v_mov_b32_e32 v53, v51
	v_pk_fma_f32 v[66:67], v[92:93], v[34:35], v[38:39] op_sel:[0,0,1] op_sel_hi:[1,1,0]
	s_waitcnt lgkmcnt(0)
	v_pk_add_f32 v[70:71], v[36:37], v[44:45] neg_lo:[0,1] neg_hi:[0,1]
	v_pk_fma_f32 v[68:69], v[92:93], v[34:35], v[38:39] op_sel:[0,0,1] op_sel_hi:[0,1,0] neg_lo:[0,0,1] neg_hi:[0,0,1]
	v_pk_fma_f32 v[72:73], v[36:37], 2.0, v[70:71] op_sel_hi:[1,0,1] neg_lo:[0,0,1] neg_hi:[0,0,1]
	ds_read2_b64 v[34:37], v104 offset0:16 offset1:32
	ds_read2_b64 v[38:41], v104 offset0:48 offset1:64
	;; [unrolled: 1-line block ×3, first 2 shown]
	v_mov_b32_e32 v55, v57
	v_mov_b32_e32 v67, v69
	s_waitcnt lgkmcnt(2)
	v_pk_add_f32 v[46:47], v[34:35], v[46:47] neg_lo:[0,1] neg_hi:[0,1]
	v_pk_add_f32 v[48:49], v[36:37], v[58:59] neg_lo:[0,1] neg_hi:[0,1]
	v_mov_b32_e32 v63, v65
	v_pk_fma_f32 v[34:35], v[34:35], 2.0, v[46:47] op_sel_hi:[1,0,1] neg_lo:[0,0,1] neg_hi:[0,0,1]
	v_pk_fma_f32 v[36:37], v[36:37], 2.0, v[48:49] op_sel_hi:[1,0,1] neg_lo:[0,0,1] neg_hi:[0,0,1]
	s_waitcnt lgkmcnt(0)
	v_pk_add_f32 v[50:51], v[42:43], v[54:55] neg_lo:[0,1] neg_hi:[0,1]
	v_pk_add_f32 v[54:55], v[44:45], v[66:67] neg_lo:[0,1] neg_hi:[0,1]
	;; [unrolled: 1-line block ×4, first 2 shown]
	s_waitcnt lgkmcnt(0)
	; wave barrier
	ds_write2_b64 v5, v[72:73], v[70:71] offset1:56
	v_pk_fma_f32 v[42:43], v[42:43], 2.0, v[50:51] op_sel_hi:[1,0,1] neg_lo:[0,0,1] neg_hi:[0,0,1]
	v_pk_fma_f32 v[44:45], v[44:45], 2.0, v[54:55] op_sel_hi:[1,0,1] neg_lo:[0,0,1] neg_hi:[0,0,1]
	;; [unrolled: 1-line block ×4, first 2 shown]
	ds_write_b64 v104, v[34:35] offset:128
	ds_write_b64 v5, v[46:47] offset:576
	;; [unrolled: 1-line block ×4, first 2 shown]
	ds_write2_b64 v3, v[38:39], v[56:57] offset1:56
	ds_write2_b64 v5, v[40:41], v[42:43] offset0:120 offset1:136
	ds_write2_b64 v5, v[44:45], v[52:53] offset0:152 offset1:176
	;; [unrolled: 1-line block ×3, first 2 shown]
	s_waitcnt lgkmcnt(0)
	; wave barrier
	s_waitcnt lgkmcnt(0)
	ds_read2_b64 v[34:37], v104 offset0:112 offset1:128
	ds_read_b64 v[40:41], v5
	ds_read_b64 v[46:47], v104 offset:1664
	s_waitcnt lgkmcnt(2)
	v_pk_mul_f32 v[38:39], v[100:101], v[34:35] op_sel:[1,0]
	s_nop 0
	v_pk_fma_f32 v[42:43], v[100:101], v[34:35], v[38:39] op_sel:[0,0,1] op_sel_hi:[1,1,0]
	v_pk_fma_f32 v[34:35], v[100:101], v[34:35], v[38:39] op_sel:[0,0,1] op_sel_hi:[0,1,0] neg_lo:[0,0,1] neg_hi:[0,0,1]
	v_mov_b32_e32 v43, v35
	s_waitcnt lgkmcnt(1)
	v_pk_add_f32 v[48:49], v[40:41], v[42:43] neg_lo:[0,1] neg_hi:[0,1]
	ds_read2_b64 v[42:45], v104 offset0:144 offset1:160
	v_pk_fma_f32 v[50:51], v[40:41], 2.0, v[48:49] op_sel_hi:[1,0,1] neg_lo:[0,0,1] neg_hi:[0,0,1]
	ds_read2_b64 v[38:41], v104 offset0:16 offset1:32
	v_pk_mul_f32 v[34:35], v[86:87], v[36:37] op_sel:[1,0]
	s_waitcnt lgkmcnt(1)
	v_pk_mul_f32 v[58:59], v[78:79], v[44:45] op_sel:[1,0]
	v_pk_fma_f32 v[52:53], v[86:87], v[36:37], v[34:35] op_sel:[0,0,1] op_sel_hi:[1,1,0]
	v_pk_fma_f32 v[34:35], v[86:87], v[36:37], v[34:35] op_sel:[0,0,1] op_sel_hi:[0,1,0] neg_lo:[0,0,1] neg_hi:[0,0,1]
	v_mov_b32_e32 v53, v35
	v_pk_mul_f32 v[34:35], v[84:85], v[42:43] op_sel:[1,0]
	s_waitcnt lgkmcnt(0)
	v_pk_add_f32 v[52:53], v[38:39], v[52:53] neg_lo:[0,1] neg_hi:[0,1]
	v_pk_fma_f32 v[36:37], v[84:85], v[42:43], v[34:35] op_sel:[0,0,1] op_sel_hi:[1,1,0]
	v_pk_fma_f32 v[34:35], v[84:85], v[42:43], v[34:35] op_sel:[0,0,1] op_sel_hi:[0,1,0] neg_lo:[0,0,1] neg_hi:[0,0,1]
	v_mov_b32_e32 v37, v35
	v_pk_add_f32 v[42:43], v[40:41], v[36:37] neg_lo:[0,1] neg_hi:[0,1]
	ds_read2_b64 v[34:37], v104 offset0:48 offset1:64
	v_pk_fma_f32 v[54:55], v[38:39], 2.0, v[52:53] op_sel_hi:[1,0,1] neg_lo:[0,0,1] neg_hi:[0,0,1]
	v_pk_fma_f32 v[56:57], v[40:41], 2.0, v[42:43] op_sel_hi:[1,0,1] neg_lo:[0,0,1] neg_hi:[0,0,1]
	ds_read2_b64 v[38:41], v104 offset0:176 offset1:192
	v_pk_fma_f32 v[60:61], v[78:79], v[44:45], v[58:59] op_sel:[0,0,1] op_sel_hi:[1,1,0]
	v_pk_fma_f32 v[44:45], v[78:79], v[44:45], v[58:59] op_sel:[0,0,1] op_sel_hi:[0,1,0] neg_lo:[0,0,1] neg_hi:[0,0,1]
	v_mov_b32_e32 v61, v45
	s_waitcnt lgkmcnt(1)
	v_pk_add_f32 v[44:45], v[34:35], v[60:61] neg_lo:[0,1] neg_hi:[0,1]
	s_waitcnt lgkmcnt(0)
	v_pk_mul_f32 v[62:63], v[90:91], v[40:41] op_sel:[1,0]
	v_pk_fma_f32 v[58:59], v[34:35], 2.0, v[44:45] op_sel_hi:[1,0,1] neg_lo:[0,0,1] neg_hi:[0,0,1]
	v_pk_mul_f32 v[34:35], v[94:95], v[38:39] op_sel:[1,0]
	v_pk_fma_f32 v[64:65], v[90:91], v[40:41], v[62:63] op_sel:[0,0,1] op_sel_hi:[1,1,0]
	v_pk_fma_f32 v[60:61], v[94:95], v[38:39], v[34:35] op_sel:[0,0,1] op_sel_hi:[1,1,0]
	v_pk_fma_f32 v[34:35], v[94:95], v[38:39], v[34:35] op_sel:[0,0,1] op_sel_hi:[0,1,0] neg_lo:[0,0,1] neg_hi:[0,0,1]
	v_mov_b32_e32 v61, v35
	v_pk_add_f32 v[38:39], v[36:37], v[60:61] neg_lo:[0,1] neg_hi:[0,1]
	v_pk_fma_f32 v[40:41], v[90:91], v[40:41], v[62:63] op_sel:[0,0,1] op_sel_hi:[0,1,0] neg_lo:[0,0,1] neg_hi:[0,0,1]
	v_pk_fma_f32 v[60:61], v[36:37], 2.0, v[38:39] op_sel_hi:[1,0,1] neg_lo:[0,0,1] neg_hi:[0,0,1]
	ds_read2_b64 v[34:37], v104 offset0:80 offset1:96
	v_mov_b32_e32 v65, v41
	v_pk_mul_f32 v[62:63], v[102:103], v[46:47] op_sel:[1,0]
	s_waitcnt lgkmcnt(0)
	v_pk_add_f32 v[40:41], v[34:35], v[64:65] neg_lo:[0,1] neg_hi:[0,1]
	v_pk_fma_f32 v[64:65], v[102:103], v[46:47], v[62:63] op_sel:[0,0,1] op_sel_hi:[1,1,0]
	v_pk_fma_f32 v[46:47], v[102:103], v[46:47], v[62:63] op_sel:[0,0,1] op_sel_hi:[0,1,0] neg_lo:[0,0,1] neg_hi:[0,0,1]
	v_mov_b32_e32 v65, v47
	v_pk_fma_f32 v[34:35], v[34:35], 2.0, v[40:41] op_sel_hi:[1,0,1] neg_lo:[0,0,1] neg_hi:[0,0,1]
	v_pk_add_f32 v[46:47], v[36:37], v[64:65] neg_lo:[0,1] neg_hi:[0,1]
	s_nop 0
	v_pk_fma_f32 v[36:37], v[36:37], 2.0, v[46:47] op_sel_hi:[1,0,1] neg_lo:[0,0,1] neg_hi:[0,0,1]
	ds_write_b64 v5, v[50:51]
	ds_write2_b64 v104, v[48:49], v[52:53] offset0:112 offset1:128
	ds_write2_b64 v104, v[54:55], v[56:57] offset0:16 offset1:32
	;; [unrolled: 1-line block ×6, first 2 shown]
	ds_write_b64 v104, v[46:47] offset:1664
	s_waitcnt lgkmcnt(0)
	; wave barrier
	s_waitcnt lgkmcnt(0)
	ds_read_b64 v[34:35], v5
	ds_read_b64 v[42:43], v104 offset:1664
	v_mov_b32_e32 v38, s0
	v_mov_b32_e32 v39, s1
	s_mov_b32 s0, 0x92492492
	s_waitcnt lgkmcnt(1)
	v_mul_f32_e32 v3, v23, v35
	v_fmac_f32_e32 v3, v22, v34
	v_cvt_f64_f32_e32 v[36:37], v3
	v_mul_f32_e32 v3, v23, v34
	s_mov_b32 s1, 0x3f724924
	v_fma_f32 v3, v22, v35, -v3
	v_mul_f64 v[36:37], v[36:37], s[0:1]
	v_cvt_f64_f32_e32 v[22:23], v3
	v_cvt_f32_f64_e32 v40, v[36:37]
	v_mul_f64 v[22:23], v[22:23], s[0:1]
	ds_read2_b64 v[34:37], v104 offset0:16 offset1:32
	v_cvt_f32_f64_e32 v41, v[22:23]
	v_mad_u64_u32 v[22:23], s[2:3], s4, v2, 0
	v_mov_b32_e32 v5, v32
	v_mov_b32_e32 v32, v23
	v_mad_u64_u32 v[2:3], s[2:3], s5, v2, v[32:33]
	v_mov_b32_e32 v23, v2
	v_lshl_add_u64 v[2:3], v[4:5], 3, v[38:39]
	v_lshl_add_u64 v[22:23], v[22:23], 3, v[2:3]
	s_waitcnt lgkmcnt(0)
	v_mul_f32_e32 v2, v17, v37
	v_fmac_f32_e32 v2, v16, v36
	v_cvt_f64_f32_e32 v[2:3], v2
	v_mul_f64 v[2:3], v[2:3], s[0:1]
	v_cvt_f32_f64_e32 v38, v[2:3]
	v_mul_f32_e32 v2, v17, v36
	v_fma_f32 v2, v16, v37, -v2
	v_cvt_f64_f32_e32 v[2:3], v2
	v_mul_f64 v[16:17], v[2:3], s[0:1]
	ds_read2_b64 v[2:5], v104 offset0:48 offset1:64
	s_lshl_b64 s[2:3], s[4:5], 8
	v_cvt_f32_f64_e32 v39, v[16:17]
	v_lshl_add_u64 v[16:17], v[22:23], 0, s[2:3]
	global_store_dwordx2 v[22:23], v[40:41], off
	global_store_dwordx2 v[16:17], v[38:39], off
	ds_read2_b64 v[36:39], v104 offset0:80 offset1:96
	s_waitcnt lgkmcnt(1)
	v_mul_f32_e32 v22, v11, v5
	v_fmac_f32_e32 v22, v10, v4
	v_mul_f32_e32 v4, v11, v4
	v_fma_f32 v4, v10, v5, -v4
	s_waitcnt lgkmcnt(0)
	v_mul_f32_e32 v10, v13, v39
	v_fmac_f32_e32 v10, v12, v38
	v_cvt_f64_f32_e32 v[22:23], v22
	v_cvt_f64_f32_e32 v[4:5], v4
	;; [unrolled: 1-line block ×3, first 2 shown]
	v_mul_f64 v[22:23], v[22:23], s[0:1]
	v_mul_f64 v[4:5], v[4:5], s[0:1]
	;; [unrolled: 1-line block ×3, first 2 shown]
	v_cvt_f32_f64_e32 v22, v[22:23]
	v_cvt_f32_f64_e32 v23, v[4:5]
	v_lshl_add_u64 v[4:5], v[16:17], 0, s[2:3]
	v_cvt_f32_f64_e32 v16, v[10:11]
	v_mul_f32_e32 v10, v13, v38
	v_fma_f32 v10, v12, v39, -v10
	global_store_dwordx2 v[4:5], v[22:23], off
	v_cvt_f64_f32_e32 v[22:23], v10
	ds_read2_b64 v[10:13], v104 offset0:112 offset1:128
	v_mul_f64 v[22:23], v[22:23], s[0:1]
	v_cvt_f32_f64_e32 v17, v[22:23]
	v_lshl_add_u64 v[4:5], v[4:5], 0, s[2:3]
	ds_read2_b64 v[38:41], v104 offset0:144 offset1:160
	global_store_dwordx2 v[4:5], v[16:17], off
	s_waitcnt lgkmcnt(1)
	v_mul_f32_e32 v16, v9, v13
	v_mul_f32_e32 v9, v9, v12
	v_fmac_f32_e32 v16, v8, v12
	v_fma_f32 v8, v8, v13, -v9
	v_cvt_f64_f32_e32 v[16:17], v16
	v_cvt_f64_f32_e32 v[8:9], v8
	v_mul_f64 v[16:17], v[16:17], s[0:1]
	v_mul_f64 v[8:9], v[8:9], s[0:1]
	v_cvt_f32_f64_e32 v16, v[16:17]
	v_cvt_f32_f64_e32 v17, v[8:9]
	v_lshl_add_u64 v[8:9], v[4:5], 0, s[2:3]
	s_waitcnt lgkmcnt(0)
	v_mul_f32_e32 v4, v7, v41
	v_fmac_f32_e32 v4, v6, v40
	v_cvt_f64_f32_e32 v[4:5], v4
	v_mul_f64 v[4:5], v[4:5], s[0:1]
	v_cvt_f32_f64_e32 v12, v[4:5]
	v_mul_f32_e32 v4, v7, v40
	v_fma_f32 v4, v6, v41, -v4
	global_store_dwordx2 v[8:9], v[16:17], off
	v_cvt_f64_f32_e32 v[16:17], v4
	ds_read2_b64 v[4:7], v104 offset0:176 offset1:192
	v_mul_f64 v[16:17], v[16:17], s[0:1]
	v_cvt_f32_f64_e32 v13, v[16:17]
	v_lshl_add_u64 v[8:9], v[8:9], 0, s[2:3]
	global_store_dwordx2 v[8:9], v[12:13], off
	s_waitcnt lgkmcnt(0)
	v_mul_f32_e32 v12, v1, v7
	v_fmac_f32_e32 v12, v0, v6
	v_mul_f32_e32 v1, v1, v6
	v_mul_f32_e32 v6, v15, v35
	v_fmac_f32_e32 v6, v14, v34
	v_fma_f32 v0, v0, v7, -v1
	v_cvt_f64_f32_e32 v[6:7], v6
	v_mul_f64 v[6:7], v[6:7], s[0:1]
	v_cvt_f64_f32_e32 v[12:13], v12
	v_cvt_f64_f32_e32 v[0:1], v0
	v_cvt_f32_f64_e32 v6, v[6:7]
	v_mul_f32_e32 v7, v15, v34
	v_mul_f64 v[12:13], v[12:13], s[0:1]
	v_mul_f64 v[0:1], v[0:1], s[0:1]
	v_fma_f32 v7, v14, v35, -v7
	v_cvt_f32_f64_e32 v12, v[12:13]
	v_cvt_f32_f64_e32 v13, v[0:1]
	v_lshl_add_u64 v[0:1], v[8:9], 0, s[2:3]
	v_cvt_f64_f32_e32 v[8:9], v7
	s_mulk_i32 s5, 0xfa80
	global_store_dwordx2 v[0:1], v[12:13], off
	v_mul_f64 v[8:9], v[8:9], s[0:1]
	v_mad_u64_u32 v[0:1], s[6:7], s4, v33, v[0:1]
	s_sub_i32 s4, s5, s4
	v_cvt_f32_f64_e32 v7, v[8:9]
	v_add_u32_e32 v1, s4, v1
	global_store_dwordx2 v[0:1], v[6:7], off
	v_mul_f32_e32 v6, v19, v3
	v_fmac_f32_e32 v6, v18, v2
	v_mul_f32_e32 v2, v19, v2
	v_fma_f32 v2, v18, v3, -v2
	v_cvt_f64_f32_e32 v[6:7], v6
	v_cvt_f64_f32_e32 v[2:3], v2
	v_mul_f64 v[6:7], v[6:7], s[0:1]
	v_mul_f64 v[2:3], v[2:3], s[0:1]
	v_cvt_f32_f64_e32 v6, v[6:7]
	v_cvt_f32_f64_e32 v7, v[2:3]
	v_mul_f32_e32 v2, v21, v37
	v_fmac_f32_e32 v2, v20, v36
	v_cvt_f64_f32_e32 v[2:3], v2
	v_mul_f64 v[2:3], v[2:3], s[0:1]
	v_cvt_f32_f64_e32 v2, v[2:3]
	v_mul_f32_e32 v3, v21, v36
	v_lshl_add_u64 v[0:1], v[0:1], 0, s[2:3]
	v_fma_f32 v3, v20, v37, -v3
	global_store_dwordx2 v[0:1], v[6:7], off
	v_cvt_f64_f32_e32 v[6:7], v3
	v_mul_f64 v[6:7], v[6:7], s[0:1]
	v_cvt_f32_f64_e32 v3, v[6:7]
	v_lshl_add_u64 v[0:1], v[0:1], 0, s[2:3]
	global_store_dwordx2 v[0:1], v[2:3], off
	v_mul_f32_e32 v2, v25, v11
	v_fmac_f32_e32 v2, v24, v10
	v_cvt_f64_f32_e32 v[2:3], v2
	v_mul_f64 v[2:3], v[2:3], s[0:1]
	v_cvt_f32_f64_e32 v2, v[2:3]
	v_mul_f32_e32 v3, v25, v10
	v_fma_f32 v3, v24, v11, -v3
	v_cvt_f64_f32_e32 v[6:7], v3
	v_mul_f64 v[6:7], v[6:7], s[0:1]
	v_cvt_f32_f64_e32 v3, v[6:7]
	v_lshl_add_u64 v[0:1], v[0:1], 0, s[2:3]
	global_store_dwordx2 v[0:1], v[2:3], off
	v_mul_f32_e32 v2, v27, v39
	v_fmac_f32_e32 v2, v26, v38
	v_cvt_f64_f32_e32 v[2:3], v2
	v_mul_f64 v[2:3], v[2:3], s[0:1]
	v_cvt_f32_f64_e32 v2, v[2:3]
	v_mul_f32_e32 v3, v27, v38
	v_fma_f32 v3, v26, v39, -v3
	;; [unrolled: 12-line block ×4, first 2 shown]
	v_cvt_f64_f32_e32 v[4:5], v3
	v_mul_f64 v[4:5], v[4:5], s[0:1]
	v_cvt_f32_f64_e32 v3, v[4:5]
	v_lshl_add_u64 v[0:1], v[0:1], 0, s[2:3]
	global_store_dwordx2 v[0:1], v[2:3], off
.LBB0_2:
	s_endpgm
	.section	.rodata,"a",@progbits
	.p2align	6, 0x0
	.amdhsa_kernel bluestein_single_back_len224_dim1_sp_op_CI_CI
		.amdhsa_group_segment_fixed_size 7168
		.amdhsa_private_segment_fixed_size 0
		.amdhsa_kernarg_size 104
		.amdhsa_user_sgpr_count 2
		.amdhsa_user_sgpr_dispatch_ptr 0
		.amdhsa_user_sgpr_queue_ptr 0
		.amdhsa_user_sgpr_kernarg_segment_ptr 1
		.amdhsa_user_sgpr_dispatch_id 0
		.amdhsa_user_sgpr_kernarg_preload_length 0
		.amdhsa_user_sgpr_kernarg_preload_offset 0
		.amdhsa_user_sgpr_private_segment_size 0
		.amdhsa_uses_dynamic_stack 0
		.amdhsa_enable_private_segment 0
		.amdhsa_system_sgpr_workgroup_id_x 1
		.amdhsa_system_sgpr_workgroup_id_y 0
		.amdhsa_system_sgpr_workgroup_id_z 0
		.amdhsa_system_sgpr_workgroup_info 0
		.amdhsa_system_vgpr_workitem_id 0
		.amdhsa_next_free_vgpr 170
		.amdhsa_next_free_sgpr 26
		.amdhsa_accum_offset 172
		.amdhsa_reserve_vcc 1
		.amdhsa_float_round_mode_32 0
		.amdhsa_float_round_mode_16_64 0
		.amdhsa_float_denorm_mode_32 3
		.amdhsa_float_denorm_mode_16_64 3
		.amdhsa_dx10_clamp 1
		.amdhsa_ieee_mode 1
		.amdhsa_fp16_overflow 0
		.amdhsa_tg_split 0
		.amdhsa_exception_fp_ieee_invalid_op 0
		.amdhsa_exception_fp_denorm_src 0
		.amdhsa_exception_fp_ieee_div_zero 0
		.amdhsa_exception_fp_ieee_overflow 0
		.amdhsa_exception_fp_ieee_underflow 0
		.amdhsa_exception_fp_ieee_inexact 0
		.amdhsa_exception_int_div_zero 0
	.end_amdhsa_kernel
	.text
.Lfunc_end0:
	.size	bluestein_single_back_len224_dim1_sp_op_CI_CI, .Lfunc_end0-bluestein_single_back_len224_dim1_sp_op_CI_CI
                                        ; -- End function
	.section	.AMDGPU.csdata,"",@progbits
; Kernel info:
; codeLenInByte = 11048
; NumSgprs: 32
; NumVgprs: 170
; NumAgprs: 0
; TotalNumVgprs: 170
; ScratchSize: 0
; MemoryBound: 0
; FloatMode: 240
; IeeeMode: 1
; LDSByteSize: 7168 bytes/workgroup (compile time only)
; SGPRBlocks: 3
; VGPRBlocks: 21
; NumSGPRsForWavesPerEU: 32
; NumVGPRsForWavesPerEU: 170
; AccumOffset: 172
; Occupancy: 2
; WaveLimiterHint : 1
; COMPUTE_PGM_RSRC2:SCRATCH_EN: 0
; COMPUTE_PGM_RSRC2:USER_SGPR: 2
; COMPUTE_PGM_RSRC2:TRAP_HANDLER: 0
; COMPUTE_PGM_RSRC2:TGID_X_EN: 1
; COMPUTE_PGM_RSRC2:TGID_Y_EN: 0
; COMPUTE_PGM_RSRC2:TGID_Z_EN: 0
; COMPUTE_PGM_RSRC2:TIDIG_COMP_CNT: 0
; COMPUTE_PGM_RSRC3_GFX90A:ACCUM_OFFSET: 42
; COMPUTE_PGM_RSRC3_GFX90A:TG_SPLIT: 0
	.text
	.p2alignl 6, 3212836864
	.fill 256, 4, 3212836864
	.type	__hip_cuid_e22a71f7ee72858d,@object ; @__hip_cuid_e22a71f7ee72858d
	.section	.bss,"aw",@nobits
	.globl	__hip_cuid_e22a71f7ee72858d
__hip_cuid_e22a71f7ee72858d:
	.byte	0                               ; 0x0
	.size	__hip_cuid_e22a71f7ee72858d, 1

	.ident	"AMD clang version 19.0.0git (https://github.com/RadeonOpenCompute/llvm-project roc-6.4.0 25133 c7fe45cf4b819c5991fe208aaa96edf142730f1d)"
	.section	".note.GNU-stack","",@progbits
	.addrsig
	.addrsig_sym __hip_cuid_e22a71f7ee72858d
	.amdgpu_metadata
---
amdhsa.kernels:
  - .agpr_count:     0
    .args:
      - .actual_access:  read_only
        .address_space:  global
        .offset:         0
        .size:           8
        .value_kind:     global_buffer
      - .actual_access:  read_only
        .address_space:  global
        .offset:         8
        .size:           8
        .value_kind:     global_buffer
      - .actual_access:  read_only
        .address_space:  global
        .offset:         16
        .size:           8
        .value_kind:     global_buffer
      - .actual_access:  read_only
        .address_space:  global
        .offset:         24
        .size:           8
        .value_kind:     global_buffer
      - .actual_access:  read_only
        .address_space:  global
        .offset:         32
        .size:           8
        .value_kind:     global_buffer
      - .offset:         40
        .size:           8
        .value_kind:     by_value
      - .address_space:  global
        .offset:         48
        .size:           8
        .value_kind:     global_buffer
      - .address_space:  global
        .offset:         56
        .size:           8
        .value_kind:     global_buffer
      - .address_space:  global
        .offset:         64
        .size:           8
        .value_kind:     global_buffer
      - .address_space:  global
        .offset:         72
        .size:           8
        .value_kind:     global_buffer
      - .offset:         80
        .size:           4
        .value_kind:     by_value
      - .address_space:  global
        .offset:         88
        .size:           8
        .value_kind:     global_buffer
      - .address_space:  global
        .offset:         96
        .size:           8
        .value_kind:     global_buffer
    .group_segment_fixed_size: 7168
    .kernarg_segment_align: 8
    .kernarg_segment_size: 104
    .language:       OpenCL C
    .language_version:
      - 2
      - 0
    .max_flat_workgroup_size: 64
    .name:           bluestein_single_back_len224_dim1_sp_op_CI_CI
    .private_segment_fixed_size: 0
    .sgpr_count:     32
    .sgpr_spill_count: 0
    .symbol:         bluestein_single_back_len224_dim1_sp_op_CI_CI.kd
    .uniform_work_group_size: 1
    .uses_dynamic_stack: false
    .vgpr_count:     170
    .vgpr_spill_count: 0
    .wavefront_size: 64
amdhsa.target:   amdgcn-amd-amdhsa--gfx950
amdhsa.version:
  - 1
  - 2
...

	.end_amdgpu_metadata
